;; amdgpu-corpus repo=ROCm/aiter kind=harvested arch=n/a opt=n/a

/root/src/amdgpu-assembly/repos/ROCm__aiter/hsa/gfx950/fmha_v3_bwd/bwd_hd64_bf16_causal_a16_rtne.co:	file format elf64-amdgpu

Disassembly of section .text:

0000000000004000 <_ZN5aiter44fmha_bwd_hd64_bf16_causal_a16_rtne_recompileE>:
	s_and_b32 s1, s1, 0xffff                                   // 000000004000: 8601FF01 0000FFFF
	s_load_dwordx2 s[32:33], s[0:1], 0x0                       // 000000004008: C0060800 00000000
	s_load_dwordx2 s[36:37], s[0:1], 0x10                      // 000000004010: C0060900 00000010
	s_load_dwordx2 s[40:41], s[0:1], 0x20                      // 000000004018: C0060A00 00000020
	s_load_dwordx2 s[8:9], s[0:1], 0x30                        // 000000004020: C0060200 00000030
	s_load_dwordx2 s[12:13], s[0:1], 0x40                      // 000000004028: C0060300 00000040
	s_load_dwordx2 s[16:17], s[0:1], 0x50                      // 000000004030: C0060400 00000050
	s_load_dwordx2 s[20:21], s[0:1], 0x60                      // 000000004038: C0060500 00000060
	s_load_dwordx2 s[24:25], s[0:1], 0x70                      // 000000004040: C0060600 00000070
	s_load_dwordx2 s[28:29], s[0:1], 0x80                      // 000000004048: C0060700 00000080
	s_load_dword s48, s[0:1], 0x90                             // 000000004050: C0020C00 00000090
	s_load_dword s49, s[0:1], 0xa0                             // 000000004058: C0020C40 000000A0
	s_load_dword s50, s[0:1], 0xb0                             // 000000004060: C0020C80 000000B0
	s_load_dword s51, s[0:1], 0xc0                             // 000000004068: C0020CC0 000000C0
	s_load_dword s52, s[0:1], 0xd0                             // 000000004070: C0020D00 000000D0
	s_load_dword s53, s[0:1], 0xe0                             // 000000004078: C0020D40 000000E0
	s_load_dword s70, s[0:1], 0xf0                             // 000000004080: C0021180 000000F0
	s_load_dword s44, s[0:1], 0x100                            // 000000004088: C0020B00 00000100
	s_load_dword s5, s[0:1], 0x110                             // 000000004090: C0020140 00000110
	s_load_dword s6, s[0:1], 0x120                             // 000000004098: C0020180 00000120
	s_load_dword s7, s[0:1], 0x130                             // 0000000040A0: C00201C0 00000130
	s_load_dword s46, s[0:1], 0x140                            // 0000000040A8: C0020B80 00000140
	s_load_dword s93, s[0:1], 0x180                            // 0000000040B0: C0021740 00000180
	s_load_dword s92, s[0:1], 0x240                            // 0000000040B8: C0021700 00000240
	v_lshrrev_b32_e32 v1, 10, v0                               // 0000000040C0: 2002008A
	v_lshrrev_b32_e32 v2, 10, v1                               // 0000000040C4: 2004028A
	v_and_b32_e32 v2, 0x3ff, v2                                // 0000000040C8: 260404FF 000003FF
	v_and_b32_e32 v1, 0x3ff, v1                                // 0000000040D0: 260202FF 000003FF
	v_and_b32_e32 v0, 0x3ff, v0                                // 0000000040D8: 260000FF 000003FF
	v_lshrrev_b32_e32 v3, 6, v0                                // 0000000040E0: 20060086
	v_and_b32_e32 v0, 63, v0                                   // 0000000040E4: 260000BF
	s_mov_b32 s2, s2                                           // 0000000040E8: BE820002
	s_mov_b32 s3, s3                                           // 0000000040EC: BE830003
	s_mov_b32 s4, s4                                           // 0000000040F0: BE840004
	v_readfirstlane_b32 s47, v3                                // 0000000040F4: 7E5E0503
	s_waitcnt lgkmcnt(0)                                       // 0000000040F8: BF8CC07F
	s_mov_b32 s10, 0x80000000                                  // 0000000040FC: BE8A00FF 80000000
	s_mov_b32 s14, 0x80000000                                  // 000000004104: BE8E00FF 80000000
	s_mov_b32 s18, 0x80000000                                  // 00000000410C: BE9200FF 80000000
	s_mov_b32 s22, 0x80000000                                  // 000000004114: BE9600FF 80000000
	s_mov_b32 s26, 0x80000000                                  // 00000000411C: BE9A00FF 80000000
	s_mov_b32 s30, 0x80000000                                  // 000000004124: BE9E00FF 80000000
	s_mov_b32 s38, 0x80000000                                  // 00000000412C: BEA600FF 80000000
	s_mov_b32 s42, 0x80000000                                  // 000000004134: BEAA00FF 80000000
	s_mov_b32 s11, 0x20000                                     // 00000000413C: BE8B00FF 00020000
	s_mov_b32 s15, 0x20000                                     // 000000004144: BE8F00FF 00020000
	s_mov_b32 s19, 0x20000                                     // 00000000414C: BE9300FF 00020000
	s_mov_b32 s23, 0x20000                                     // 000000004154: BE9700FF 00020000
	s_mov_b32 s27, 0x20000                                     // 00000000415C: BE9B00FF 00020000
	s_mov_b32 s31, 0x20000                                     // 000000004164: BE9F00FF 00020000
	s_mov_b32 s39, 0x20000                                     // 00000000416C: BEA700FF 00020000
	s_mov_b32 s43, 0x20000                                     // 000000004174: BEAB00FF 00020000
	s_and_b32 s9, s9, 0xffff                                   // 00000000417C: 8609FF09 0000FFFF
	s_and_b32 s13, s13, 0xffff                                 // 000000004184: 860DFF0D 0000FFFF
	s_and_b32 s17, s17, 0xffff                                 // 00000000418C: 8611FF11 0000FFFF
	s_and_b32 s21, s21, 0xffff                                 // 000000004194: 8615FF15 0000FFFF
	s_and_b32 s25, s25, 0xffff                                 // 00000000419C: 8619FF19 0000FFFF
	s_and_b32 s29, s29, 0xffff                                 // 0000000041A4: 861DFF1D 0000FFFF
	s_and_b32 s37, s37, 0xffff                                 // 0000000041AC: 8625FF25 0000FFFF
	s_and_b32 s41, s41, 0xffff                                 // 0000000041B4: 8629FF29 0000FFFF
	s_or_b32 s9, s9, 0x40000                                   // 0000000041BC: 8709FF09 00040000
	s_or_b32 s13, s13, 0x40000                                 // 0000000041C4: 870DFF0D 00040000
	s_or_b32 s17, s17, 0x40000                                 // 0000000041CC: 8711FF11 00040000
	s_or_b32 s21, s21, 0x40000                                 // 0000000041D4: 8715FF15 00040000
	s_or_b32 s25, s25, 0x40000                                 // 0000000041DC: 8719FF19 00040000
	s_or_b32 s29, s29, 0x40000                                 // 0000000041E4: 871DFF1D 00040000
	s_or_b32 s37, s37, 0x40000                                 // 0000000041EC: 8725FF25 00040000
	s_or_b32 s41, s41, 0x40000                                 // 0000000041F4: 8729FF29 00040000
	v_accvgpr_write_b32 a159, 0                                // 0000000041FC: D3D9409F 18000080
	v_mov_b32_e32 v231, 0                                      // 000000004204: 7FCE0280
	s_mov_b32 s82, s8                                          // 000000004208: BED20008
	s_mov_b32 s84, s12                                         // 00000000420C: BED4000C
	s_mov_b32 s86, s16                                         // 000000004210: BED60010
	s_mov_b32 s88, s20                                         // 000000004214: BED80014
	s_mov_b32 s90, s32                                         // 000000004218: BEDA0020
	s_mov_b32 s83, s9                                          // 00000000421C: BED30009
	s_mov_b32 s85, s13                                         // 000000004220: BED5000D
	s_mov_b32 s87, s17                                         // 000000004224: BED70011
	s_mov_b32 s89, s21                                         // 000000004228: BED90015
	s_mov_b32 s91, s33                                         // 00000000422C: BEDB0021
	s_mov_b32 s71, s3                                          // 000000004230: BEC70003
	v_cvt_f32_u32_e32 v32, s44                                 // 000000004234: 7E400C2C
	s_sub_i32 s60, 0, s44                                      // 000000004238: 81BC2C80
	v_rcp_iflag_f32_e32 v32, v32                               // 00000000423C: 7E404720
	s_nop 0                                                    // 000000004240: BF800000
	v_mul_f32_e32 v32, 0x4f7ffffe, v32                         // 000000004244: 0A4040FF 4F7FFFFE
	v_cvt_u32_f32_e32 v32, v32                                 // 00000000424C: 7E400F20
	v_mul_lo_u32 v33, s60, v32                                 // 000000004250: D2850021 0002403C
	v_mul_hi_u32 v33, v32, v33                                 // 000000004258: D2860021 00024320
	v_add_u32_e32 v32, v32, v33                                // 000000004260: 68404320
	v_mul_hi_u32 v32, s71, v32                                 // 000000004264: D2860020 00024047
	v_mul_lo_u32 v33, v32, s44                                 // 00000000426C: D2850021 00005920
	v_sub_u32_e32 v35, s71, v33                                // 000000004274: 6A464247
	v_add_u32_e32 v34, 1, v32                                  // 000000004278: 68444081
	v_cmp_le_u32_e32 vcc, s44, v35                             // 00000000427C: 7D96462C
	v_subrev_u32_e32 v33, s44, v35                             // 000000004280: 6C42462C
	s_nop 0                                                    // 000000004284: BF800000
	v_cndmask_b32_e32 v32, v32, v34, vcc                       // 000000004288: 00404520
	v_cndmask_b32_e32 v35, v35, v33, vcc                       // 00000000428C: 00464323
	v_add_u32_e32 v33, 1, v32                                  // 000000004290: 68424081
	v_cmp_le_u32_e32 vcc, s44, v35                             // 000000004294: 7D96462C
	s_nop 1                                                    // 000000004298: BF800001
	v_cndmask_b32_e32 v35, v32, v33, vcc                       // 00000000429C: 00464320
	s_nop 3                                                    // 0000000042A0: BF800003
	v_readfirstlane_b32 s45, v35                               // 0000000042A4: 7E5A0523
	s_nop 3                                                    // 0000000042A8: BF800003
	s_add_u32 s71, 0x80, s50                                   // 0000000042AC: 804732FF 00000080
	s_mov_b32 s74, 0xc0                                        // 0000000042B4: BECA00FF 000000C0
	v_cvt_f32_u32_e32 v32, s74                                 // 0000000042BC: 7E400C4A
	s_sub_i32 s60, 0, s74                                      // 0000000042C0: 81BC4A80
	v_rcp_iflag_f32_e32 v32, v32                               // 0000000042C4: 7E404720
	s_nop 0                                                    // 0000000042C8: BF800000
	v_mul_f32_e32 v32, 0x4f7ffffe, v32                         // 0000000042CC: 0A4040FF 4F7FFFFE
	v_cvt_u32_f32_e32 v32, v32                                 // 0000000042D4: 7E400F20
	v_mul_lo_u32 v33, s60, v32                                 // 0000000042D8: D2850021 0002403C
	v_mul_hi_u32 v33, v32, v33                                 // 0000000042E0: D2860021 00024320
	v_add_u32_e32 v32, v32, v33                                // 0000000042E8: 68404320
	v_mul_hi_u32 v32, s71, v32                                 // 0000000042EC: D2860020 00024047
	v_mul_lo_u32 v33, v32, s74                                 // 0000000042F4: D2850021 00009520
	v_sub_u32_e32 v35, s71, v33                                // 0000000042FC: 6A464247
	v_add_u32_e32 v34, 1, v32                                  // 000000004300: 68444081
	v_cmp_le_u32_e32 vcc, s74, v35                             // 000000004304: 7D96464A
	v_subrev_u32_e32 v33, s74, v35                             // 000000004308: 6C42464A
	s_nop 0                                                    // 00000000430C: BF800000
	v_cndmask_b32_e32 v32, v32, v34, vcc                       // 000000004310: 00404520
	v_cndmask_b32_e32 v35, v35, v33, vcc                       // 000000004314: 00464323
	v_add_u32_e32 v33, 1, v32                                  // 000000004318: 68424081
	v_cmp_le_u32_e32 vcc, s74, v35                             // 00000000431C: 7D96464A
	s_nop 1                                                    // 000000004320: BF800001
	v_cndmask_b32_e32 v35, v32, v33, vcc                       // 000000004324: 00464320
	s_nop 3                                                    // 000000004328: BF800003
	v_readfirstlane_b32 s77, v35                               // 00000000432C: 7E9A0523
	s_nop 3                                                    // 000000004330: BF800003
	v_mov_b32_e32 v32, s48                                     // 000000004334: 7E400230
	v_mul_f32_e32 v32, s49, v32                                // 000000004338: 0A404031
	s_mov_b32 s66, 0                                           // 00000000433C: BEC20080
	s_mov_b32 s58, s50                                         // 000000004340: BEBA0032
	s_mov_b32 s59, 0                                           // 000000004344: BEBB0080
	s_mov_b32 s63, 0x5040100                                   // 000000004348: BEBF00FF 05040100
	s_mov_b32 s64, 0x7060302                                   // 000000004350: BEC000FF 07060302
	v_readfirstlane_b32 s57, v32                               // 000000004358: 7E720520
	v_mov_b32_e32 v34, 0x3020706                               // 00000000435C: 7E4402FF 03020706
	v_mov_b32_e32 v32, s63                                     // 000000004364: 7E40023F
	v_and_b32_e32 v33, 1, v0                                   // 000000004368: 26420081
	v_cmp_eq_u32_e32 vcc, 1, v33                               // 00000000436C: 7D944281
	s_mul_i32 s67, 32, s70                                     // 000000004370: 924346A0
	v_cndmask_b32_e32 v21, v32, v34, vcc                       // 000000004374: 002A4520
	v_mov_b32_e32 v229, 0xffff0000                             // 000000004378: 7FCA02FF FFFF0000
	v_mov_b32_e32 v230, 0x7fff0000                             // 000000004380: 7FCC02FF 7FFF0000
	v_mov_b32_e32 v231, 0x7fff                                 // 000000004388: 7FCE02FF 00007FFF
	s_cmp_lt_u32 s47, 2                                        // 000000004390: BF0A822F
	s_cselect_b32 s24, s24, s28                                // 000000004394: 85181C18
	s_cselect_b32 s25, s25, s29                                // 000000004398: 85191D19
	s_cselect_b32 s26, s26, s30                                // 00000000439C: 851A1E1A
	s_cselect_b32 s27, s27, s31                                // 0000000043A0: 851B1F1B
	s_lshr_b32 s60, s47, 1                                     // 0000000043A4: 8F3C812F
	s_lshl_b32 s60, s60, 8                                     // 0000000043A8: 8E3C883C
	s_add_u32 s80, 0x8b00, s60                                 // 0000000043AC: 80503CFF 00008B00
	s_add_u32 s81, 0x200, s80                                  // 0000000043B4: 805150FF 00000200
	s_mov_b32 s75, 0                                           // 0000000043BC: BECB0080
	s_mov_b32 s76, 1                                           // 0000000043C0: BECC0081
	s_lshl_b32 s60, s2, 1                                      // 0000000043C4: 8E3C8102
	s_add_u32 s60, 1, s60                                      // 0000000043C8: 803C3C81
	s_mul_i32 s60, 0xc0, s60                                   // 0000000043CC: 923C3CFF 000000C0
	s_cmp_ge_i32 s60, s50                                      // 0000000043D4: BF03323C
	s_cselect_b32 s76, s76, 2                                  // 0000000043D8: 854C824C

00000000000043dc <label_00F7>:
	s_mov_b32 m0, s80                                          // 0000000043DC: BEFC0050
	s_mov_b32 s66, 0                                           // 0000000043E0: BEC20080
	v_mov_b32_e32 v178, 0xff800000                             // 0000000043E4: 7F6402FF FF800000
	s_mov_b32 s74, 0                                           // 0000000043EC: BECA0080
	s_mul_i32 s68, 32, s70                                     // 0000000043F0: 924446A0
	s_mov_b32 s69, 32                                          // 0000000043F4: BEC500A0
	s_mul_i32 s60, s2, s51                                     // 0000000043F8: 923C3302
	s_mul_i32 s61, s45, s5                                     // 0000000043FC: 923D052D
	s_mul_i32 s62, s4, s6                                      // 000000004400: 923E0604
	s_add_u32 s54, s60, s61                                    // 000000004404: 80363D3C
	s_add_u32 s54, s54, s62                                    // 000000004408: 80363E36
	s_mul_i32 s61, s3, s52                                     // 00000000440C: 923D3403
	s_mul_i32 s62, s4, s53                                     // 000000004410: 923E3504
	s_add_u32 s55, s61, s62                                    // 000000004414: 80373E3D
	s_mul_i32 s60, 0xc0, s2                                    // 000000004418: 923C02FF 000000C0
	s_mul_i32 s60, s70, s60                                    // 000000004420: 923C3C46
	s_add_u32 s55, s60, s55                                    // 000000004424: 8037373C
	s_mov_b32 s56, s55                                         // 000000004428: BEB80037
	s_mul_i32 s59, 0xc0, s2                                    // 00000000442C: 923B02FF 000000C0
	s_add_u32 s73, 32, s59                                     // 000000004434: 80493BA0
	s_mul_i32 s62, s4, s93                                     // 000000004438: 923E5D04
	s_mul_i32 s62, s62, s92                                    // 00000000443C: 923E5C3E
	s_mul_i32 s61, s3, s92                                     // 000000004440: 923D5C03
	s_add_u32 s65, s61, s62                                    // 000000004444: 80413E3D
	s_mul_i32 s60, 0x300, s2                                   // 000000004448: 923C02FF 00000300
	s_add_u32 s65, s60, s65                                    // 000000004450: 8041413C
	s_mov_b32 s71, s7                                          // 000000004454: BEC70007
	v_lshrrev_b32_e32 v32, 4, v0                               // 000000004458: 20400084
	v_and_b32_e32 v33, 1, v32                                  // 00000000445C: 26424081
	v_lshlrev_b32_e32 v33, 1, v33                              // 000000004460: 24424281
	v_mul_i32_i24_e32 v33, s71, v33                            // 000000004464: 0C424247
	v_and_b32_e32 v34, 2, v32                                  // 000000004468: 26444082
	v_lshlrev_b32_e32 v34, 5, v34                              // 00000000446C: 24444485
	v_add_u32_e32 v33, v34, v33                                // 000000004470: 68424322
	v_and_b32_e32 v32, 15, v0                                  // 000000004474: 2640008F
	v_lshlrev_b32_e32 v32, 2, v32                              // 000000004478: 24404082
	v_add_u32_e32 v1, v32, v33                                 // 00000000447C: 68024320
	s_mul_i32 s60, s47, s71                                    // 000000004480: 923C472F
	s_mul_i32 s60, s60, 4                                      // 000000004484: 923C843C
	v_add_u32_e32 v1, s60, v1                                  // 000000004488: 6802023C
	v_add_u32_e32 v2, s71, v1                                  // 00000000448C: 68040247
	s_mul_i32 s60, 16, s71                                     // 000000004490: 923C4790
	v_add_u32_e32 v3, s60, v1                                  // 000000004494: 6806023C
	v_add_u32_e32 v4, s60, v2                                  // 000000004498: 6808043C
	v_lshrrev_b32_e32 v1, 2, v1                                // 00000000449C: 20020282
	v_lshrrev_b32_e32 v2, 2, v2                                // 0000000044A0: 20040482
	s_add_u32 s12, s54, s84                                    // 0000000044A4: 800C5436
	s_addc_u32 s13, 0, s85                                     // 0000000044A8: 820D5580
	s_add_u32 s16, s54, s86                                    // 0000000044AC: 80105636
	s_addc_u32 s17, 0, s87                                     // 0000000044B0: 82115780
	s_add_u32 s8, s55, s82                                     // 0000000044B4: 80085237
	s_addc_u32 s9, 0, s83                                      // 0000000044B8: 82095380
	s_add_u32 s20, s56, s88                                    // 0000000044BC: 80145838
	s_addc_u32 s21, 0, s89                                     // 0000000044C0: 82155980
	v_and_b32_e32 v15, 31, v0                                  // 0000000044C4: 261E009F
	v_lshlrev_b32_e32 v15, 2, v15                              // 0000000044C8: 241E1E82
	v_add_u32_e32 v15, s65, v15                                // 0000000044CC: 681E1E41
	v_lshrrev_b32_e32 v15, 2, v15                              // 0000000044D0: 201E1E82
	v_lshrrev_b32_e32 v32, 3, v0                               // 0000000044D4: 20400083
	v_mul_i32_i24_e32 v5, s46, v32                             // 0000000044D8: 0C0A402E
	v_lshrrev_b32_e32 v5, 2, v5                                // 0000000044DC: 200A0A82
	v_and_b32_e32 v32, 7, v0                                   // 0000000044E0: 26400087
	v_lshlrev_b32_e32 v33, 2, v32                              // 0000000044E4: 24424082
	v_add_u32_e32 v5, v33, v5                                  // 0000000044E8: 680A0B21
	s_mul_i32 s60, 16, s46                                     // 0000000044EC: 923C2E90
	s_mul_i32 s60, s47, s60                                    // 0000000044F0: 923C3C2F
	v_lshlrev_b32_e32 v5, 2, v5                                // 0000000044F4: 240A0A82
	v_add_u32_e32 v5, s60, v5                                  // 0000000044F8: 680A0A3C
	s_mul_i32 s60, 0xc0, s46                                   // 0000000044FC: 923C2EFF 000000C0
	s_mul_i32 s60, s2, s60                                     // 000000004504: 923C3C02
	s_mul_i32 s61, s3, s5                                      // 000000004508: 923D0503
	s_mul_i32 s62, s4, s6                                      // 00000000450C: 923E0604
	s_mul_i32 s62, s62, s44                                    // 000000004510: 923E2C3E
	s_add_u32 s60, s60, s61                                    // 000000004514: 803C3D3C
	s_add_u32 s60, s60, s62                                    // 000000004518: 803C3E3C
	v_add_u32_e32 v5, s60, v5                                  // 00000000451C: 680A0A3C
	v_lshrrev_b32_e32 v5, 2, v5                                // 000000004520: 200A0A82
	v_mov_b32_e32 v14, v5                                      // 000000004524: 7E1C0305
	v_lshrrev_b32_e32 v32, 5, v0                               // 000000004528: 20400085
	v_mul_i32_i24_e32 v6, s70, v32                             // 00000000452C: 0C0C4046
	v_lshrrev_b32_e32 v6, 2, v6                                // 000000004530: 200C0C82
	v_and_b32_e32 v32, 31, v0                                  // 000000004534: 2640009F
	v_add_u32_e32 v6, v32, v6                                  // 000000004538: 680C0D20
	s_mul_i32 s60, s70, 2                                      // 00000000453C: 923C8246
	s_mul_i32 s60, s47, s60                                    // 000000004540: 923C3C2F
	v_add_u32_e32 v6, s60, v6                                  // 000000004544: 680C0C3C
	v_lshlrev_b32_e32 v6, 2, v6                                // 000000004548: 240C0C82
	s_mul_i32 s60, 2, s70                                      // 00000000454C: 923C4682
	v_add_u32_e32 v7, s60, v6                                  // 000000004550: 680E0C3C
	v_add_u32_e32 v8, s60, v7                                  // 000000004554: 68100E3C
	v_add_u32_e32 v9, s60, v8                                  // 000000004558: 6812103C
	s_mov_b32 s60, s55                                         // 00000000455C: BEBC0037
	v_add_u32_e32 v12, s60, v9                                 // 000000004560: 6818123C
	v_add_u32_e32 v10, s60, v8                                 // 000000004564: 6814103C
	v_add_u32_e32 v8, s60, v7                                  // 000000004568: 68100E3C
	v_add_u32_e32 v6, s60, v6                                  // 00000000456C: 680C0C3C
	v_mov_b32_e32 v7, 0                                        // 000000004570: 7E0E0280
	v_mov_b32_e32 v9, 0                                        // 000000004574: 7E120280
	v_mov_b32_e32 v11, 0                                       // 000000004578: 7E160280
	v_mov_b32_e32 v13, 0                                       // 00000000457C: 7E1A0280
	s_mul_i32 s60, 3, s2                                       // 000000004580: 923C0283
	s_lshr_b32 s61, s50, 6                                     // 000000004584: 8F3D8632
	s_sub_i32 s72, s61, s60                                    // 000000004588: 81C83C3D
	s_cmp_lt_i32 s72, 3                                        // 00000000458C: BF048348
	s_cselect_b32 s72, s72, 3                                  // 000000004590: 85488348
	v_and_b32_e32 v32, 31, v0                                  // 000000004594: 2640009F
	v_lshrrev_b32_e32 v32, 1, v32                              // 000000004598: 20404081
	v_and_b32_e32 v33, 1, v32                                  // 00000000459C: 26424081
	v_lshlrev_b32_e32 v33, 4, v33                              // 0000000045A0: 24424284
	v_and_b32_e32 v34, 2, v32                                  // 0000000045A4: 26444082
	v_lshlrev_b32_e32 v34, 2, v34                              // 0000000045A8: 24444482
	v_add_u32_e32 v33, v34, v33                                // 0000000045AC: 68424322
	v_and_b32_e32 v34, 12, v32                                 // 0000000045B0: 2644408C
	v_lshrrev_b32_e32 v34, 1, v34                              // 0000000045B4: 20444481
	v_add_u32_e32 v33, v34, v33                                // 0000000045B8: 68424322
	v_lshrrev_b32_e32 v32, 5, v0                               // 0000000045BC: 20400085
	v_mul_i32_i24_e32 v34, 0x80, v32                           // 0000000045C0: 0C4440FF 00000080
	v_add_u32_e32 v33, v34, v33                                // 0000000045C8: 68424322
	v_and_b32_e32 v34, 1, v0                                   // 0000000045CC: 26440081
	v_add_u32_e32 v17, v34, v33                                // 0000000045D0: 68224322
	s_mul_i32 s60, s47, 32                                     // 0000000045D4: 923CA02F
	v_add_u32_e32 v17, s60, v17                                // 0000000045D8: 6822223C
	v_lshlrev_b32_e32 v17, 2, v17                              // 0000000045DC: 24222282
	v_lshrrev_b32_e32 v32, 4, v0                               // 0000000045E0: 20400084
	v_and_b32_e32 v33, 1, v32                                  // 0000000045E4: 26424081
	v_lshlrev_b32_e32 v33, 4, v33                              // 0000000045E8: 24424284
	v_and_b32_e32 v34, 2, v32                                  // 0000000045EC: 26444082
	v_mul_i32_i24_e32 v34, 4, v34                              // 0000000045F0: 0C444484
	v_add_u32_e32 v33, v34, v33                                // 0000000045F4: 68424322
	v_and_b32_e32 v32, 15, v0                                  // 0000000045F8: 2640008F
	v_lshrrev_b32_e32 v34, 2, v32                              // 0000000045FC: 20444082
	v_lshlrev_b32_e32 v34, 5, v34                              // 000000004600: 24444485
	v_add_u32_e32 v33, v34, v33                                // 000000004604: 68424322
	v_and_b32_e32 v32, 3, v0                                   // 000000004608: 26400083
	v_and_b32_e32 v34, 1, v32                                  // 00000000460C: 26444081
	v_mul_i32_i24_e32 v34, 0x108, v34                          // 000000004610: 0C4444FF 00000108
	v_add_u32_e32 v33, v34, v33                                // 000000004618: 68424322
	v_and_b32_e32 v34, 2, v32                                  // 00000000461C: 26444082
	v_lshlrev_b32_e32 v34, 1, v34                              // 000000004620: 24444481
	v_add_u32_e32 v16, v34, v33                                // 000000004624: 68204322
	v_lshlrev_b32_e32 v16, 2, v16                              // 000000004628: 24202082
	s_mul_i32 s60, s47, 0x880                                  // 00000000462C: 923CFF2F 00000880
	v_add_u32_e32 v28, s60, v16                                // 000000004634: 6838203C
	v_lshrrev_b32_e32 v32, 5, v0                               // 000000004638: 20400085
	v_mul_i32_i24_e32 v19, 0x80, v32                           // 00000000463C: 0C2640FF 00000080
	v_and_b32_e32 v32, 31, v0                                  // 000000004644: 2640009F
	v_and_b32_e32 v33, 7, v32                                  // 000000004648: 26424087
	v_and_b32_e32 v34, 1, v33                                  // 00000000464C: 26444281
	v_lshlrev_b32_e32 v34, 2, v34                              // 000000004650: 24444482
	v_add_u32_e32 v19, v34, v19                                // 000000004654: 68262722
	v_and_b32_e32 v34, 2, v33                                  // 000000004658: 26444282
	v_lshlrev_b32_e32 v34, 3, v34                              // 00000000465C: 24444483
	v_add_u32_e32 v19, v34, v19                                // 000000004660: 68262722
	v_and_b32_e32 v34, 4, v33                                  // 000000004664: 26444284
	v_lshlrev_b32_e32 v34, 1, v34                              // 000000004668: 24444481
	v_add_u32_e32 v19, v34, v19                                // 00000000466C: 68262722
	v_lshrrev_b32_e32 v33, 3, v32                              // 000000004670: 20424083
	v_and_b32_e32 v34, 1, v33                                  // 000000004674: 26444281
	v_lshlrev_b32_e32 v34, 1, v34                              // 000000004678: 24444481
	v_add_u32_e32 v19, v34, v19                                // 00000000467C: 68262722
	v_and_b32_e32 v34, 2, v33                                  // 000000004680: 26444282
	v_lshrrev_b32_e32 v34, 1, v34                              // 000000004684: 20444481
	v_add_u32_e32 v19, v34, v19                                // 000000004688: 68262722
	s_mul_i32 s60, s47, 32                                     // 00000000468C: 923CA02F
	v_add_u32_e32 v19, s60, v19                                // 000000004690: 6826263C
	v_lshlrev_b32_e32 v19, 2, v19                              // 000000004694: 24262682
	v_and_b32_e32 v32, 15, v0                                  // 000000004698: 2640008F
	v_and_b32_e32 v34, 1, v32                                  // 00000000469C: 26444081
	v_mul_i32_i24_e32 v18, 0x108, v34                          // 0000000046A0: 0C2444FF 00000108
	v_and_b32_e32 v34, 2, v32                                  // 0000000046A8: 26444082
	v_lshlrev_b32_e32 v34, 1, v34                              // 0000000046AC: 24444481
	v_add_u32_e32 v18, v34, v18                                // 0000000046B0: 68242522
	v_and_b32_e32 v34, 4, v32                                  // 0000000046B4: 26444084
	v_lshlrev_b32_e32 v34, 2, v34                              // 0000000046B8: 24444482
	v_add_u32_e32 v18, v34, v18                                // 0000000046BC: 68242522
	v_and_b32_e32 v34, 8, v32                                  // 0000000046C0: 26444088
	v_add_u32_e32 v18, v34, v18                                // 0000000046C4: 68242522
	v_lshrrev_b32_e32 v32, 4, v0                               // 0000000046C8: 20400084
	v_and_b32_e32 v34, 1, v32                                  // 0000000046CC: 26444081
	v_lshlrev_b32_e32 v34, 5, v34                              // 0000000046D0: 24444485
	v_add_u32_e32 v18, v34, v18                                // 0000000046D4: 68242522
	v_and_b32_e32 v33, 2, v32                                  // 0000000046D8: 26424082
	v_mul_i32_i24_e32 v34, 32, v33                             // 0000000046DC: 0C4442A0
	v_mul_i32_i24_e32 v33, 0x110, v33                          // 0000000046E0: 0C4242FF 00000110
	v_add_u32_e32 v29, v33, v18                                // 0000000046E8: 683A2521
	v_add_u32_e32 v18, v34, v18                                // 0000000046EC: 68242522
	v_lshlrev_b32_e32 v18, 2, v18                              // 0000000046F0: 24242482
	v_lshlrev_b32_e32 v29, 2, v29                              // 0000000046F4: 243A3A82
	s_and_b32 s60, 1, s47                                      // 0000000046F8: 863C2F81
	s_mul_i32 s60, s60, 0x200                                  // 0000000046FC: 923CFF3C 00000200
	v_add_u32_e32 v29, s60, v29                                // 000000004704: 683A3A3C
	v_lshrrev_b32_e32 v32, 4, v0                               // 000000004708: 20400084
	v_mul_i32_i24_e32 v27, 4, v32                              // 00000000470C: 0C364084
	v_and_b32_e32 v33, 3, v0                                   // 000000004710: 26420083
	v_add_u32_e32 v27, v33, v27                                // 000000004714: 68363721
	v_lshlrev_b32_e32 v27, 2, v27                              // 000000004718: 24363682
	v_lshrrev_b32_e32 v32, 5, v0                               // 00000000471C: 20400085
	v_mul_i32_i24_e32 v25, 2, v32                              // 000000004720: 0C324082
	v_and_b32_e32 v32, 31, v0                                  // 000000004724: 2640009F
	v_lshrrev_b32_e32 v32, 1, v32                              // 000000004728: 20404081
	v_mul_i32_i24_e32 v33, 34, v32                             // 00000000472C: 0C4240A2
	v_add_u32_e32 v25, v33, v25                                // 000000004730: 68323321
	v_and_b32_e32 v33, 1, v0                                   // 000000004734: 26420081
	v_add_u32_e32 v25, v33, v25                                // 000000004738: 68323321
	s_and_b32 s60, 1, s47                                      // 00000000473C: 863C2F81
	s_mul_i32 s60, s60, 16                                     // 000000004740: 923C903C
	s_lshr_b32 s61, s47, 1                                     // 000000004744: 8F3D812F
	s_mul_i32 s61, s61, 0x220                                  // 000000004748: 923DFF3D 00000220
	s_add_u32 s60, s60, s61                                    // 000000004750: 803C3D3C
	v_add_u32_e32 v25, s60, v25                                // 000000004754: 6832323C
	v_lshlrev_b32_e32 v25, 2, v25                              // 000000004758: 24323282
	v_lshrrev_b32_e32 v32, 4, v0                               // 00000000475C: 20400084
	v_mul_i32_i24_e32 v26, 34, v32                             // 000000004760: 0C3440A2
	v_and_b32_e32 v32, 15, v0                                  // 000000004764: 2640008F
	v_mul_i32_i24_e32 v33, 2, v32                              // 000000004768: 0C424082
	v_add_u32_e32 v26, v33, v26                                // 00000000476C: 68343521
	s_mul_i32 s60, s47, 0x110                                  // 000000004770: 923CFF2F 00000110
	v_add_u32_e32 v26, s60, v26                                // 000000004778: 6834343C
	v_lshlrev_b32_e32 v26, 2, v26                              // 00000000477C: 24343482
	v_lshrrev_b32_e32 v32, 5, v0                               // 000000004780: 20400085
	v_mul_i32_i24_e32 v23, 64, v32                             // 000000004784: 0C2E40C0
	v_and_b32_e32 v32, 31, v0                                  // 000000004788: 2640009F
	v_and_b32_e32 v32, 3, v32                                  // 00000000478C: 26404083
	v_and_b32_e32 v33, 1, v32                                  // 000000004790: 26424081
	v_mul_i32_i24_e32 v33, 4, v33                              // 000000004794: 0C424284
	v_add_u32_e32 v23, v33, v23                                // 000000004798: 682E2F21
	v_and_b32_e32 v33, 2, v32                                  // 00000000479C: 26424082
	v_mul_i32_i24_e32 v33, 0x44, v33                           // 0000000047A0: 0C4242FF 00000044
	v_add_u32_e32 v23, v33, v23                                // 0000000047A8: 682E2F21
	v_and_b32_e32 v32, 31, v0                                  // 0000000047AC: 2640009F
	v_lshrrev_b32_e32 v32, 2, v32                              // 0000000047B0: 20404082
	v_lshrrev_b32_e32 v34, 2, v32                              // 0000000047B4: 20444082
	v_mul_i32_i24_e32 v33, 16, v34                             // 0000000047B8: 0C424490
	v_add_u32_e32 v23, v33, v23                                // 0000000047BC: 682E2F21
	v_and_b32_e32 v33, 2, v32                                  // 0000000047C0: 26424082
	v_lshlrev_b32_e32 v33, 4, v33                              // 0000000047C4: 24424284
	v_add_u32_e32 v23, v33, v23                                // 0000000047C8: 682E2F21
	v_and_b32_e32 v33, 1, v32                                  // 0000000047CC: 26424081
	v_xor_b32_e32 v33, v34, v33                                // 0000000047D0: 2A424322
	v_mul_i32_i24_e32 v33, 8, v33                              // 0000000047D4: 0C424288
	v_add_u32_e32 v23, v33, v23                                // 0000000047D8: 682E2F21
	s_lshr_b32 s60, s47, 1                                     // 0000000047DC: 8F3C812F
	s_mul_i32 s60, s60, 0x6c0                                  // 0000000047E0: 923CFF3C 000006C0
	v_add_u32_e32 v23, s60, v23                                // 0000000047E8: 682E2E3C
	v_lshlrev_b32_e32 v23, 2, v23                              // 0000000047EC: 242E2E82
	v_lshrrev_b32_e32 v32, 5, v0                               // 0000000047F0: 20400085
	v_mul_i32_i24_e32 v24, 32, v32                             // 0000000047F4: 0C3040A0
	v_and_b32_e32 v32, 31, v0                                  // 0000000047F8: 2640009F
	v_and_b32_e32 v32, 3, v32                                  // 0000000047FC: 26404083
	v_and_b32_e32 v33, 1, v32                                  // 000000004800: 26424081
	v_mul_i32_i24_e32 v33, 4, v33                              // 000000004804: 0C424284
	v_add_u32_e32 v24, v33, v24                                // 000000004808: 68303121
	v_and_b32_e32 v33, 2, v32                                  // 00000000480C: 26424082
	v_lshrrev_b32_e32 v33, 1, v33                              // 000000004810: 20424281
	v_add_u32_e32 v24, v33, v24                                // 000000004814: 68303121
	v_and_b32_e32 v32, 31, v0                                  // 000000004818: 2640009F
	v_lshrrev_b32_e32 v32, 2, v32                              // 00000000481C: 20404082
	v_and_b32_e32 v34, 1, v32                                  // 000000004820: 26444081
	v_mul_i32_i24_e32 v33, 16, v34                             // 000000004824: 0C424490
	v_add_u32_e32 v24, v33, v24                                // 000000004828: 68303121
	v_and_b32_e32 v33, 2, v32                                  // 00000000482C: 26424082
	v_add_u32_e32 v24, v33, v24                                // 000000004830: 68303121
	v_lshrrev_b32_e32 v33, 2, v32                              // 000000004834: 20424082
	v_xor_b32_e32 v33, v34, v33                                // 000000004838: 2A424322
	v_mul_i32_i24_e32 v33, 8, v33                              // 00000000483C: 0C424288
	v_add_u32_e32 v24, v33, v24                                // 000000004840: 68303121
	s_and_b32 s60, 1, s47                                      // 000000004844: 863C2F81
	s_mul_i32 s60, s60, 64                                     // 000000004848: 923CC03C
	s_lshr_b32 s61, s47, 1                                     // 00000000484C: 8F3D812F
	s_mul_i32 s61, s61, 0x120                                  // 000000004850: 923DFF3D 00000120
	s_add_u32 s60, s60, s61                                    // 000000004858: 803C3D3C
	v_add_u32_e32 v24, s60, v24                                // 00000000485C: 6830303C
	v_lshlrev_b32_e32 v24, 2, v24                              // 000000004860: 24303082
	buffer_load_dword v180, v1, s[12:15], 0 idxen              // 000000004864: E0502000 8003B401
	buffer_load_dword v181, v2, s[12:15], 0 idxen              // 00000000486C: E0502000 8003B502
	s_mul_i32 s60, 16, s7                                      // 000000004874: 923C0790
	s_cmp_lt_i32 0, s72                                        // 000000004878: BF044880
	s_cselect_b32 s60, s60, 0                                  // 00000000487C: 853C803C
	s_add_u32 s12, s60, s12                                    // 000000004880: 800C0C3C
	s_addc_u32 s13, 0, s13                                     // 000000004884: 820D0D80
	buffer_load_dword v182, v1, s[12:15], 0 idxen              // 000000004888: E0502000 8003B601
	buffer_load_dword v183, v2, s[12:15], 0 idxen              // 000000004890: E0502000 8003B702
	s_mul_i32 s60, 16, s7                                      // 000000004898: 923C0790
	s_cmp_lt_i32 0, s72                                        // 00000000489C: BF044880
	s_cselect_b32 s60, s60, 0                                  // 0000000048A0: 853C803C
	s_add_u32 s12, s60, s12                                    // 0000000048A4: 800C0C3C
	s_addc_u32 s13, 0, s13                                     // 0000000048A8: 820D0D80
	buffer_load_dword v184, v1, s[12:15], 0 idxen              // 0000000048AC: E0502000 8003B801
	buffer_load_dword v185, v2, s[12:15], 0 idxen              // 0000000048B4: E0502000 8003B902
	s_mul_i32 s60, 16, s7                                      // 0000000048BC: 923C0790
	s_cmp_lt_i32 0, s72                                        // 0000000048C0: BF044880
	s_cselect_b32 s60, s60, 0                                  // 0000000048C4: 853C803C
	s_add_u32 s12, s60, s12                                    // 0000000048C8: 800C0C3C
	s_addc_u32 s13, 0, s13                                     // 0000000048CC: 820D0D80
	buffer_load_dword v186, v1, s[12:15], 0 idxen              // 0000000048D0: E0502000 8003BA01
	buffer_load_dword v187, v2, s[12:15], 0 idxen              // 0000000048D8: E0502000 8003BB02
	s_mul_i32 s60, 16, s7                                      // 0000000048E0: 923C0790
	s_cmp_lt_i32 1, s72                                        // 0000000048E4: BF044881
	s_cselect_b32 s60, s60, 0                                  // 0000000048E8: 853C803C
	s_add_u32 s12, s60, s12                                    // 0000000048EC: 800C0C3C
	s_addc_u32 s13, 0, s13                                     // 0000000048F0: 820D0D80
	buffer_load_dword v188, v1, s[12:15], 0 idxen              // 0000000048F4: E0502000 8003BC01
	buffer_load_dword v189, v2, s[12:15], 0 idxen              // 0000000048FC: E0502000 8003BD02
	s_mul_i32 s60, 16, s7                                      // 000000004904: 923C0790
	s_cmp_lt_i32 1, s72                                        // 000000004908: BF044881
	s_cselect_b32 s60, s60, 0                                  // 00000000490C: 853C803C
	s_add_u32 s12, s60, s12                                    // 000000004910: 800C0C3C
	s_addc_u32 s13, 0, s13                                     // 000000004914: 820D0D80
	buffer_load_dword v190, v1, s[12:15], 0 idxen              // 000000004918: E0502000 8003BE01
	buffer_load_dword v191, v2, s[12:15], 0 idxen              // 000000004920: E0502000 8003BF02
	s_mul_i32 s60, 16, s7                                      // 000000004928: 923C0790
	s_cmp_lt_i32 1, s72                                        // 00000000492C: BF044881
	s_cselect_b32 s60, s60, 0                                  // 000000004930: 853C803C
	s_add_u32 s12, s60, s12                                    // 000000004934: 800C0C3C
	s_addc_u32 s13, 0, s13                                     // 000000004938: 820D0D80
	buffer_load_dword v192, v1, s[12:15], 0 idxen              // 00000000493C: E0502000 8003C001
	buffer_load_dword v193, v2, s[12:15], 0 idxen              // 000000004944: E0502000 8003C102
	s_mul_i32 s60, 16, s7                                      // 00000000494C: 923C0790
	s_cmp_lt_i32 1, s72                                        // 000000004950: BF044881
	s_cselect_b32 s60, s60, 0                                  // 000000004954: 853C803C
	s_add_u32 s12, s60, s12                                    // 000000004958: 800C0C3C
	s_addc_u32 s13, 0, s13                                     // 00000000495C: 820D0D80
	buffer_load_dword v194, v1, s[12:15], 0 idxen              // 000000004960: E0502000 8003C201
	buffer_load_dword v195, v2, s[12:15], 0 idxen              // 000000004968: E0502000 8003C302
	s_mul_i32 s60, 16, s7                                      // 000000004970: 923C0790
	s_cmp_lt_i32 2, s72                                        // 000000004974: BF044882
	s_cselect_b32 s60, s60, 0                                  // 000000004978: 853C803C
	s_add_u32 s12, s60, s12                                    // 00000000497C: 800C0C3C
	s_addc_u32 s13, 0, s13                                     // 000000004980: 820D0D80
	buffer_load_dword v196, v1, s[12:15], 0 idxen              // 000000004984: E0502000 8003C401
	buffer_load_dword v197, v2, s[12:15], 0 idxen              // 00000000498C: E0502000 8003C502
	s_mul_i32 s60, 16, s7                                      // 000000004994: 923C0790
	s_cmp_lt_i32 2, s72                                        // 000000004998: BF044882
	s_cselect_b32 s60, s60, 0                                  // 00000000499C: 853C803C
	s_add_u32 s12, s60, s12                                    // 0000000049A0: 800C0C3C
	s_addc_u32 s13, 0, s13                                     // 0000000049A4: 820D0D80
	buffer_load_dword v198, v1, s[12:15], 0 idxen              // 0000000049A8: E0502000 8003C601
	buffer_load_dword v199, v2, s[12:15], 0 idxen              // 0000000049B0: E0502000 8003C702
	s_mul_i32 s60, 16, s7                                      // 0000000049B8: 923C0790
	s_cmp_lt_i32 2, s72                                        // 0000000049BC: BF044882
	s_cselect_b32 s60, s60, 0                                  // 0000000049C0: 853C803C
	s_add_u32 s12, s60, s12                                    // 0000000049C4: 800C0C3C
	s_addc_u32 s13, 0, s13                                     // 0000000049C8: 820D0D80
	buffer_load_dword v200, v1, s[12:15], 0 idxen              // 0000000049CC: E0502000 8003C801
	buffer_load_dword v201, v2, s[12:15], 0 idxen              // 0000000049D4: E0502000 8003C902
	s_mul_i32 s60, 16, s7                                      // 0000000049DC: 923C0790
	s_cmp_lt_i32 2, s72                                        // 0000000049E0: BF044882
	s_cselect_b32 s60, s60, 0                                  // 0000000049E4: 853C803C
	s_add_u32 s12, s60, s12                                    // 0000000049E8: 800C0C3C
	s_addc_u32 s13, 0, s13                                     // 0000000049EC: 820D0D80
	buffer_load_dword v202, v1, s[12:15], 0 idxen              // 0000000049F0: E0502000 8003CA01
	buffer_load_dword v203, v2, s[12:15], 0 idxen              // 0000000049F8: E0502000 8003CB02
	s_mul_i32 s60, 16, s7                                      // 000000004A00: 923C0790
	s_cmp_lt_i32 3, s72                                        // 000000004A04: BF044883
	s_cselect_b32 s60, s60, 0                                  // 000000004A08: 853C803C
	s_add_u32 s12, s60, s12                                    // 000000004A0C: 800C0C3C
	s_addc_u32 s13, 0, s13                                     // 000000004A10: 820D0D80
	s_waitcnt vmcnt(16) lgkmcnt(0)                             // 000000004A14: BF8C4070
	s_barrier                                                  // 000000004A18: BF8A0000
	s_cmp_lt_i32 0, s72                                        // 000000004A1C: BF044880
	s_cbranch_scc1 label_0291                                  // 000000004A20: BF850008
	v_mov_b32_e32 v180, 0                                      // 000000004A24: 7F680280
	v_mov_b32_e32 v181, 0                                      // 000000004A28: 7F6A0280
	v_mov_b32_e32 v182, 0                                      // 000000004A2C: 7F6C0280
	v_mov_b32_e32 v183, 0                                      // 000000004A30: 7F6E0280
	v_mov_b32_e32 v184, 0                                      // 000000004A34: 7F700280
	v_mov_b32_e32 v185, 0                                      // 000000004A38: 7F720280
	v_mov_b32_e32 v186, 0                                      // 000000004A3C: 7F740280
	v_mov_b32_e32 v187, 0                                      // 000000004A40: 7F760280

0000000000004a44 <label_0291>:
	v_perm_b32 v204, v181, v180, s63                           // 000000004A44: D1ED00CC 00FF69B5
	v_perm_b32 v205, v181, v180, s64                           // 000000004A4C: D1ED00CD 010369B5
	v_perm_b32 v206, v183, v182, s63                           // 000000004A54: D1ED00CE 00FF6DB7
	v_perm_b32 v207, v183, v182, s64                           // 000000004A5C: D1ED00CF 01036DB7
	v_perm_b32 v208, v185, v184, s63                           // 000000004A64: D1ED00D0 00FF71B9
	v_perm_b32 v209, v185, v184, s64                           // 000000004A6C: D1ED00D1 010371B9
	v_perm_b32 v210, v187, v186, s63                           // 000000004A74: D1ED00D2 00FF75BB
	v_perm_b32 v211, v187, v186, s64                           // 000000004A7C: D1ED00D3 010375BB
	ds_write_b32 v19, v204 offset:8704                         // 000000004A84: D81A2200 0000CC13
	ds_write_b32 v19, v205 offset:9760                         // 000000004A8C: D81A2620 0000CD13
	ds_write_b32 v19, v206 offset:10880                        // 000000004A94: D81A2A80 0000CE13
	ds_write_b32 v19, v207 offset:11936                        // 000000004A9C: D81A2EA0 0000CF13
	ds_write_b32 v19, v208 offset:13056                        // 000000004AA4: D81A3300 0000D013
	ds_write_b32 v19, v209 offset:14112                        // 000000004AAC: D81A3720 0000D113
	ds_write_b32 v19, v210 offset:15232                        // 000000004AB4: D81A3B80 0000D213
	ds_write_b32 v19, v211 offset:16288                        // 000000004ABC: D81A3FA0 0000D313
	ds_write_b32 v17, v180                                     // 000000004AC4: D81A0000 0000B411
	ds_write_b32 v17, v181 offset:1056                         // 000000004ACC: D81A0420 0000B511
	ds_write_b32 v17, v182 offset:2176                         // 000000004AD4: D81A0880 0000B611
	ds_write_b32 v17, v183 offset:3232                         // 000000004ADC: D81A0CA0 0000B711
	ds_write_b32 v17, v184 offset:4352                         // 000000004AE4: D81A1100 0000B811
	ds_write_b32 v17, v185 offset:5408                         // 000000004AEC: D81A1520 0000B911
	ds_write_b32 v17, v186 offset:6528                         // 000000004AF4: D81A1980 0000BA11
	ds_write_b32 v17, v187 offset:7584                         // 000000004AFC: D81A1DA0 0000BB11
	buffer_load_dword v180, v1, s[16:19], 0 idxen              // 000000004B04: E0502000 8004B401
	buffer_load_dword v181, v2, s[16:19], 0 idxen              // 000000004B0C: E0502000 8004B502
	s_mul_i32 s60, 16, s7                                      // 000000004B14: 923C0790
	s_cmp_lt_i32 0, s72                                        // 000000004B18: BF044880
	s_cselect_b32 s60, s60, 0                                  // 000000004B1C: 853C803C
	s_add_u32 s16, s60, s16                                    // 000000004B20: 8010103C
	s_addc_u32 s17, 0, s17                                     // 000000004B24: 82111180
	buffer_load_dword v182, v1, s[16:19], 0 idxen              // 000000004B28: E0502000 8004B601
	buffer_load_dword v183, v2, s[16:19], 0 idxen              // 000000004B30: E0502000 8004B702
	s_mul_i32 s60, 16, s7                                      // 000000004B38: 923C0790
	s_cmp_lt_i32 0, s72                                        // 000000004B3C: BF044880
	s_cselect_b32 s60, s60, 0                                  // 000000004B40: 853C803C
	s_add_u32 s16, s60, s16                                    // 000000004B44: 8010103C
	s_addc_u32 s17, 0, s17                                     // 000000004B48: 82111180
	buffer_load_dword v184, v1, s[16:19], 0 idxen              // 000000004B4C: E0502000 8004B801
	buffer_load_dword v185, v2, s[16:19], 0 idxen              // 000000004B54: E0502000 8004B902
	s_mul_i32 s60, 16, s7                                      // 000000004B5C: 923C0790
	s_cmp_lt_i32 0, s72                                        // 000000004B60: BF044880
	s_cselect_b32 s60, s60, 0                                  // 000000004B64: 853C803C
	s_add_u32 s16, s60, s16                                    // 000000004B68: 8010103C
	s_addc_u32 s17, 0, s17                                     // 000000004B6C: 82111180
	buffer_load_dword v186, v1, s[16:19], 0 idxen              // 000000004B70: E0502000 8004BA01
	buffer_load_dword v187, v2, s[16:19], 0 idxen              // 000000004B78: E0502000 8004BB02
	s_mul_i32 s60, 16, s7                                      // 000000004B80: 923C0790
	s_cmp_lt_i32 1, s72                                        // 000000004B84: BF044881
	s_cselect_b32 s60, s60, 0                                  // 000000004B88: 853C803C
	s_add_u32 s16, s60, s16                                    // 000000004B8C: 8010103C
	s_addc_u32 s17, 0, s17                                     // 000000004B90: 82111180
	s_waitcnt lgkmcnt(0)                                       // 000000004B94: BF8CC07F
	s_barrier                                                  // 000000004B98: BF8A0000
	ds_read_b128 a[24:27], v29 offset:8704                     // 000000004B9C: DBFE2200 1800001D
	ds_read_b128 a[28:31], v29 offset:8960                     // 000000004BA4: DBFE2300 1C00001D
	ds_read_b128 a[32:35], v29 offset:13056                    // 000000004BAC: DBFE3300 2000001D
	ds_read_b128 a[36:39], v29 offset:13312                    // 000000004BB4: DBFE3400 2400001D
	ds_read_b128 a[0:3], v28                                   // 000000004BBC: DBFE0000 0000001C
	ds_read_b128 a[4:7], v28 offset:512                        // 000000004BC4: DBFE0200 0400001C
	s_waitcnt vmcnt(16) lgkmcnt(0)                             // 000000004BCC: BF8C4070
	s_barrier                                                  // 000000004BD0: BF8A0000
	s_cmp_lt_i32 1, s72                                        // 000000004BD4: BF044881
	s_cbranch_scc1 label_02FF                                  // 000000004BD8: BF850008
	v_mov_b32_e32 v188, 0                                      // 000000004BDC: 7F780280
	v_mov_b32_e32 v189, 0                                      // 000000004BE0: 7F7A0280
	v_mov_b32_e32 v190, 0                                      // 000000004BE4: 7F7C0280
	v_mov_b32_e32 v191, 0                                      // 000000004BE8: 7F7E0280
	v_mov_b32_e32 v192, 0                                      // 000000004BEC: 7F800280
	v_mov_b32_e32 v193, 0                                      // 000000004BF0: 7F820280
	v_mov_b32_e32 v194, 0                                      // 000000004BF4: 7F840280
	v_mov_b32_e32 v195, 0                                      // 000000004BF8: 7F860280

0000000000004bfc <label_02FF>:
	v_perm_b32 v204, v189, v188, s63                           // 000000004BFC: D1ED00CC 00FF79BD
	v_perm_b32 v205, v189, v188, s64                           // 000000004C04: D1ED00CD 010379BD
	v_perm_b32 v206, v191, v190, s63                           // 000000004C0C: D1ED00CE 00FF7DBF
	v_perm_b32 v207, v191, v190, s64                           // 000000004C14: D1ED00CF 01037DBF
	v_perm_b32 v208, v193, v192, s63                           // 000000004C1C: D1ED00D0 00FF81C1
	v_perm_b32 v209, v193, v192, s64                           // 000000004C24: D1ED00D1 010381C1
	v_perm_b32 v210, v195, v194, s63                           // 000000004C2C: D1ED00D2 00FF85C3
	v_perm_b32 v211, v195, v194, s64                           // 000000004C34: D1ED00D3 010385C3
	ds_write_b32 v19, v204 offset:8704                         // 000000004C3C: D81A2200 0000CC13
	ds_write_b32 v19, v205 offset:9760                         // 000000004C44: D81A2620 0000CD13
	ds_write_b32 v19, v206 offset:10880                        // 000000004C4C: D81A2A80 0000CE13
	ds_write_b32 v19, v207 offset:11936                        // 000000004C54: D81A2EA0 0000CF13
	ds_write_b32 v19, v208 offset:13056                        // 000000004C5C: D81A3300 0000D013
	ds_write_b32 v19, v209 offset:14112                        // 000000004C64: D81A3720 0000D113
	ds_write_b32 v19, v210 offset:15232                        // 000000004C6C: D81A3B80 0000D213
	ds_write_b32 v19, v211 offset:16288                        // 000000004C74: D81A3FA0 0000D313
	ds_write_b32 v17, v188                                     // 000000004C7C: D81A0000 0000BC11
	ds_write_b32 v17, v189 offset:1056                         // 000000004C84: D81A0420 0000BD11
	ds_write_b32 v17, v190 offset:2176                         // 000000004C8C: D81A0880 0000BE11
	ds_write_b32 v17, v191 offset:3232                         // 000000004C94: D81A0CA0 0000BF11
	ds_write_b32 v17, v192 offset:4352                         // 000000004C9C: D81A1100 0000C011
	ds_write_b32 v17, v193 offset:5408                         // 000000004CA4: D81A1520 0000C111
	ds_write_b32 v17, v194 offset:6528                         // 000000004CAC: D81A1980 0000C211
	ds_write_b32 v17, v195 offset:7584                         // 000000004CB4: D81A1DA0 0000C311
	buffer_load_dword v188, v1, s[16:19], 0 idxen              // 000000004CBC: E0502000 8004BC01
	buffer_load_dword v189, v2, s[16:19], 0 idxen              // 000000004CC4: E0502000 8004BD02
	s_mul_i32 s60, 16, s7                                      // 000000004CCC: 923C0790
	s_cmp_lt_i32 1, s72                                        // 000000004CD0: BF044881
	s_cselect_b32 s60, s60, 0                                  // 000000004CD4: 853C803C
	s_add_u32 s16, s60, s16                                    // 000000004CD8: 8010103C
	s_addc_u32 s17, 0, s17                                     // 000000004CDC: 82111180
	buffer_load_dword v190, v1, s[16:19], 0 idxen              // 000000004CE0: E0502000 8004BE01
	buffer_load_dword v191, v2, s[16:19], 0 idxen              // 000000004CE8: E0502000 8004BF02
	s_mul_i32 s60, 16, s7                                      // 000000004CF0: 923C0790
	s_cmp_lt_i32 1, s72                                        // 000000004CF4: BF044881
	s_cselect_b32 s60, s60, 0                                  // 000000004CF8: 853C803C
	s_add_u32 s16, s60, s16                                    // 000000004CFC: 8010103C
	s_addc_u32 s17, 0, s17                                     // 000000004D00: 82111180
	buffer_load_dword v192, v1, s[16:19], 0 idxen              // 000000004D04: E0502000 8004C001
	buffer_load_dword v193, v2, s[16:19], 0 idxen              // 000000004D0C: E0502000 8004C102
	s_mul_i32 s60, 16, s7                                      // 000000004D14: 923C0790
	s_cmp_lt_i32 1, s72                                        // 000000004D18: BF044881
	s_cselect_b32 s60, s60, 0                                  // 000000004D1C: 853C803C
	s_add_u32 s16, s60, s16                                    // 000000004D20: 8010103C
	s_addc_u32 s17, 0, s17                                     // 000000004D24: 82111180
	buffer_load_dword v194, v1, s[16:19], 0 idxen              // 000000004D28: E0502000 8004C201
	buffer_load_dword v195, v2, s[16:19], 0 idxen              // 000000004D30: E0502000 8004C302
	s_mul_i32 s60, 16, s7                                      // 000000004D38: 923C0790
	s_cmp_lt_i32 2, s72                                        // 000000004D3C: BF044882
	s_cselect_b32 s60, s60, 0                                  // 000000004D40: 853C803C
	s_add_u32 s16, s60, s16                                    // 000000004D44: 8010103C
	s_addc_u32 s17, 0, s17                                     // 000000004D48: 82111180
	s_waitcnt lgkmcnt(0)                                       // 000000004D4C: BF8CC07F
	s_barrier                                                  // 000000004D50: BF8A0000
	ds_read_b128 a[40:43], v29 offset:8704                     // 000000004D54: DBFE2200 2800001D
	ds_read_b128 a[44:47], v29 offset:8960                     // 000000004D5C: DBFE2300 2C00001D
	ds_read_b128 a[48:51], v29 offset:13056                    // 000000004D64: DBFE3300 3000001D
	ds_read_b128 a[52:55], v29 offset:13312                    // 000000004D6C: DBFE3400 3400001D
	ds_read_b128 a[8:11], v28                                  // 000000004D74: DBFE0000 0800001C
	ds_read_b128 a[12:15], v28 offset:512                      // 000000004D7C: DBFE0200 0C00001C
	s_waitcnt vmcnt(16) lgkmcnt(0)                             // 000000004D84: BF8C4070
	s_barrier                                                  // 000000004D88: BF8A0000
	s_cmp_lt_i32 2, s72                                        // 000000004D8C: BF044882
	s_cbranch_scc1 label_036D                                  // 000000004D90: BF850008
	v_mov_b32_e32 v196, 0                                      // 000000004D94: 7F880280
	v_mov_b32_e32 v197, 0                                      // 000000004D98: 7F8A0280
	v_mov_b32_e32 v198, 0                                      // 000000004D9C: 7F8C0280
	v_mov_b32_e32 v199, 0                                      // 000000004DA0: 7F8E0280
	v_mov_b32_e32 v200, 0                                      // 000000004DA4: 7F900280
	v_mov_b32_e32 v201, 0                                      // 000000004DA8: 7F920280
	v_mov_b32_e32 v202, 0                                      // 000000004DAC: 7F940280
	v_mov_b32_e32 v203, 0                                      // 000000004DB0: 7F960280

0000000000004db4 <label_036D>:
	v_perm_b32 v204, v197, v196, s63                           // 000000004DB4: D1ED00CC 00FF89C5
	v_perm_b32 v205, v197, v196, s64                           // 000000004DBC: D1ED00CD 010389C5
	v_perm_b32 v206, v199, v198, s63                           // 000000004DC4: D1ED00CE 00FF8DC7
	v_perm_b32 v207, v199, v198, s64                           // 000000004DCC: D1ED00CF 01038DC7
	v_perm_b32 v208, v201, v200, s63                           // 000000004DD4: D1ED00D0 00FF91C9
	v_perm_b32 v209, v201, v200, s64                           // 000000004DDC: D1ED00D1 010391C9
	v_perm_b32 v210, v203, v202, s63                           // 000000004DE4: D1ED00D2 00FF95CB
	v_perm_b32 v211, v203, v202, s64                           // 000000004DEC: D1ED00D3 010395CB
	ds_write_b32 v19, v204 offset:8704                         // 000000004DF4: D81A2200 0000CC13
	ds_write_b32 v19, v205 offset:9760                         // 000000004DFC: D81A2620 0000CD13
	ds_write_b32 v19, v206 offset:10880                        // 000000004E04: D81A2A80 0000CE13
	ds_write_b32 v19, v207 offset:11936                        // 000000004E0C: D81A2EA0 0000CF13
	ds_write_b32 v19, v208 offset:13056                        // 000000004E14: D81A3300 0000D013
	ds_write_b32 v19, v209 offset:14112                        // 000000004E1C: D81A3720 0000D113
	ds_write_b32 v19, v210 offset:15232                        // 000000004E24: D81A3B80 0000D213
	ds_write_b32 v19, v211 offset:16288                        // 000000004E2C: D81A3FA0 0000D313
	ds_write_b32 v17, v196                                     // 000000004E34: D81A0000 0000C411
	ds_write_b32 v17, v197 offset:1056                         // 000000004E3C: D81A0420 0000C511
	ds_write_b32 v17, v198 offset:2176                         // 000000004E44: D81A0880 0000C611
	ds_write_b32 v17, v199 offset:3232                         // 000000004E4C: D81A0CA0 0000C711
	ds_write_b32 v17, v200 offset:4352                         // 000000004E54: D81A1100 0000C811
	ds_write_b32 v17, v201 offset:5408                         // 000000004E5C: D81A1520 0000C911
	ds_write_b32 v17, v202 offset:6528                         // 000000004E64: D81A1980 0000CA11
	ds_write_b32 v17, v203 offset:7584                         // 000000004E6C: D81A1DA0 0000CB11
	buffer_load_dword v196, v1, s[16:19], 0 idxen              // 000000004E74: E0502000 8004C401
	buffer_load_dword v197, v2, s[16:19], 0 idxen              // 000000004E7C: E0502000 8004C502
	s_mul_i32 s60, 16, s7                                      // 000000004E84: 923C0790
	s_cmp_lt_i32 2, s72                                        // 000000004E88: BF044882
	s_cselect_b32 s60, s60, 0                                  // 000000004E8C: 853C803C
	s_add_u32 s16, s60, s16                                    // 000000004E90: 8010103C
	s_addc_u32 s17, 0, s17                                     // 000000004E94: 82111180
	buffer_load_dword v198, v1, s[16:19], 0 idxen              // 000000004E98: E0502000 8004C601
	buffer_load_dword v199, v2, s[16:19], 0 idxen              // 000000004EA0: E0502000 8004C702
	s_mul_i32 s60, 16, s7                                      // 000000004EA8: 923C0790
	s_cmp_lt_i32 2, s72                                        // 000000004EAC: BF044882
	s_cselect_b32 s60, s60, 0                                  // 000000004EB0: 853C803C
	s_add_u32 s16, s60, s16                                    // 000000004EB4: 8010103C
	s_addc_u32 s17, 0, s17                                     // 000000004EB8: 82111180
	buffer_load_dword v200, v1, s[16:19], 0 idxen              // 000000004EBC: E0502000 8004C801
	buffer_load_dword v201, v2, s[16:19], 0 idxen              // 000000004EC4: E0502000 8004C902
	s_mul_i32 s60, 16, s7                                      // 000000004ECC: 923C0790
	s_cmp_lt_i32 2, s72                                        // 000000004ED0: BF044882
	s_cselect_b32 s60, s60, 0                                  // 000000004ED4: 853C803C
	s_add_u32 s16, s60, s16                                    // 000000004ED8: 8010103C
	s_addc_u32 s17, 0, s17                                     // 000000004EDC: 82111180
	buffer_load_dword v202, v1, s[16:19], 0 idxen              // 000000004EE0: E0502000 8004CA01
	buffer_load_dword v203, v2, s[16:19], 0 idxen              // 000000004EE8: E0502000 8004CB02
	s_mul_i32 s60, 16, s7                                      // 000000004EF0: 923C0790
	s_cmp_lt_i32 3, s72                                        // 000000004EF4: BF044883
	s_cselect_b32 s60, s60, 0                                  // 000000004EF8: 853C803C
	s_add_u32 s16, s60, s16                                    // 000000004EFC: 8010103C
	s_addc_u32 s17, 0, s17                                     // 000000004F00: 82111180
	s_waitcnt lgkmcnt(0)                                       // 000000004F04: BF8CC07F
	s_barrier                                                  // 000000004F08: BF8A0000
	ds_read_b128 a[56:59], v29 offset:8704                     // 000000004F0C: DBFE2200 3800001D
	ds_read_b128 a[60:63], v29 offset:8960                     // 000000004F14: DBFE2300 3C00001D
	ds_read_b128 a[64:67], v29 offset:13056                    // 000000004F1C: DBFE3300 4000001D
	ds_read_b128 a[68:71], v29 offset:13312                    // 000000004F24: DBFE3400 4400001D
	ds_read_b128 a[16:19], v28                                 // 000000004F2C: DBFE0000 1000001C
	ds_read_b128 a[20:23], v28 offset:512                      // 000000004F34: DBFE0200 1400001C
	s_waitcnt vmcnt(16) lgkmcnt(0)                             // 000000004F3C: BF8C4070
	s_barrier                                                  // 000000004F40: BF8A0000
	s_cmp_lt_i32 0, s72                                        // 000000004F44: BF044880
	s_cbranch_scc1 label_03DB                                  // 000000004F48: BF850008
	v_mov_b32_e32 v180, 0                                      // 000000004F4C: 7F680280
	v_mov_b32_e32 v181, 0                                      // 000000004F50: 7F6A0280
	v_mov_b32_e32 v182, 0                                      // 000000004F54: 7F6C0280
	v_mov_b32_e32 v183, 0                                      // 000000004F58: 7F6E0280
	v_mov_b32_e32 v184, 0                                      // 000000004F5C: 7F700280
	v_mov_b32_e32 v185, 0                                      // 000000004F60: 7F720280
	v_mov_b32_e32 v186, 0                                      // 000000004F64: 7F740280
	v_mov_b32_e32 v187, 0                                      // 000000004F68: 7F760280

0000000000004f6c <label_03DB>:
	ds_write_b32 v17, v180                                     // 000000004F6C: D81A0000 0000B411
	ds_write_b32 v17, v181 offset:1056                         // 000000004F74: D81A0420 0000B511
	ds_write_b32 v17, v182 offset:2176                         // 000000004F7C: D81A0880 0000B611
	ds_write_b32 v17, v183 offset:3232                         // 000000004F84: D81A0CA0 0000B711
	ds_write_b32 v17, v184 offset:4352                         // 000000004F8C: D81A1100 0000B811
	ds_write_b32 v17, v185 offset:5408                         // 000000004F94: D81A1520 0000B911
	ds_write_b32 v17, v186 offset:6528                         // 000000004F9C: D81A1980 0000BA11
	ds_write_b32 v17, v187 offset:7584                         // 000000004FA4: D81A1DA0 0000BB11
	s_mov_b32 s71, s70                                         // 000000004FAC: BEC70046
	v_lshrrev_b32_e32 v32, 4, v0                               // 000000004FB0: 20400084
	v_and_b32_e32 v33, 1, v32                                  // 000000004FB4: 26424081
	v_lshlrev_b32_e32 v33, 1, v33                              // 000000004FB8: 24424281
	v_mul_i32_i24_e32 v33, s71, v33                            // 000000004FBC: 0C424247
	v_and_b32_e32 v34, 2, v32                                  // 000000004FC0: 26444082
	v_lshlrev_b32_e32 v34, 5, v34                              // 000000004FC4: 24444485
	v_add_u32_e32 v33, v34, v33                                // 000000004FC8: 68424322
	v_and_b32_e32 v32, 15, v0                                  // 000000004FCC: 2640008F
	v_lshlrev_b32_e32 v32, 2, v32                              // 000000004FD0: 24404082
	v_add_u32_e32 v1, v32, v33                                 // 000000004FD4: 68024320
	s_mul_i32 s60, s47, s71                                    // 000000004FD8: 923C472F
	s_mul_i32 s60, s60, 4                                      // 000000004FDC: 923C843C
	v_add_u32_e32 v1, s60, v1                                  // 000000004FE0: 6802023C
	v_add_u32_e32 v2, s71, v1                                  // 000000004FE4: 68040247
	s_mul_i32 s60, 16, s71                                     // 000000004FE8: 923C4790
	v_add_u32_e32 v3, s60, v1                                  // 000000004FEC: 6806023C
	v_add_u32_e32 v4, s60, v2                                  // 000000004FF0: 6808043C
	v_lshrrev_b32_e32 v1, 2, v1                                // 000000004FF4: 20020282
	v_lshrrev_b32_e32 v2, 2, v2                                // 000000004FF8: 20040482
	v_lshrrev_b32_e32 v3, 2, v3                                // 000000004FFC: 20060682
	v_lshrrev_b32_e32 v4, 2, v4                                // 000000005000: 20080882
	buffer_load_dword v36, v1, s[8:11], 0 idxen                // 000000005004: E0502000 80022401
	buffer_load_dword v37, v2, s[8:11], 0 idxen                // 00000000500C: E0502000 80022502
	buffer_load_dword v38, v3, s[8:11], 0 idxen                // 000000005014: E0502000 80022603
	buffer_load_dword v39, v4, s[8:11], 0 idxen                // 00000000501C: E0502000 80022704
	buffer_load_dword v44, v1, s[20:23], 0 idxen               // 000000005024: E0502000 80052C01
	buffer_load_dword v45, v2, s[20:23], 0 idxen               // 00000000502C: E0502000 80052D02
	buffer_load_dword v46, v3, s[20:23], 0 idxen               // 000000005034: E0502000 80052E03
	buffer_load_dword v47, v4, s[20:23], 0 idxen               // 00000000503C: E0502000 80052F04
	s_waitcnt lgkmcnt(0)                                       // 000000005044: BF8CC07F
	s_barrier                                                  // 000000005048: BF8A0000
	ds_read_b128 a[72:75], v28                                 // 00000000504C: DBFE0000 4800001C
	ds_read_b128 a[76:79], v28 offset:512                      // 000000005054: DBFE0200 4C00001C
	s_add_u32 s8, s68, s8                                      // 00000000505C: 80080844
	s_addc_u32 s9, 0, s9                                       // 000000005060: 82090980
	s_add_u32 s20, s68, s20                                    // 000000005064: 80141444
	s_addc_u32 s21, 0, s21                                     // 000000005068: 82151580
	s_waitcnt vmcnt(16) lgkmcnt(0)                             // 00000000506C: BF8C4070
	s_barrier                                                  // 000000005070: BF8A0000
	s_cmp_lt_i32 1, s72                                        // 000000005074: BF044881
	s_cbranch_scc1 label_0427                                  // 000000005078: BF850008
	v_mov_b32_e32 v188, 0                                      // 00000000507C: 7F780280
	v_mov_b32_e32 v189, 0                                      // 000000005080: 7F7A0280
	v_mov_b32_e32 v190, 0                                      // 000000005084: 7F7C0280
	v_mov_b32_e32 v191, 0                                      // 000000005088: 7F7E0280
	v_mov_b32_e32 v192, 0                                      // 00000000508C: 7F800280
	v_mov_b32_e32 v193, 0                                      // 000000005090: 7F820280
	v_mov_b32_e32 v194, 0                                      // 000000005094: 7F840280
	v_mov_b32_e32 v195, 0                                      // 000000005098: 7F860280

000000000000509c <label_0427>:
	ds_write_b32 v17, v188                                     // 00000000509C: D81A0000 0000BC11
	ds_write_b32 v17, v189 offset:1056                         // 0000000050A4: D81A0420 0000BD11
	ds_write_b32 v17, v190 offset:2176                         // 0000000050AC: D81A0880 0000BE11
	ds_write_b32 v17, v191 offset:3232                         // 0000000050B4: D81A0CA0 0000BF11
	ds_write_b32 v17, v192 offset:4352                         // 0000000050BC: D81A1100 0000C011
	ds_write_b32 v17, v193 offset:5408                         // 0000000050C4: D81A1520 0000C111
	ds_write_b32 v17, v194 offset:6528                         // 0000000050CC: D81A1980 0000C211
	ds_write_b32 v17, v195 offset:7584                         // 0000000050D4: D81A1DA0 0000C311
	buffer_load_dword v40, v1, s[8:11], 0 idxen                // 0000000050DC: E0502000 80022801
	buffer_load_dword v41, v2, s[8:11], 0 idxen                // 0000000050E4: E0502000 80022902
	buffer_load_dword v42, v3, s[8:11], 0 idxen                // 0000000050EC: E0502000 80022A03
	buffer_load_dword v43, v4, s[8:11], 0 idxen                // 0000000050F4: E0502000 80022B04
	buffer_load_dword v48, v1, s[20:23], 0 idxen               // 0000000050FC: E0502000 80053001
	buffer_load_dword v49, v2, s[20:23], 0 idxen               // 000000005104: E0502000 80053102
	buffer_load_dword v50, v3, s[20:23], 0 idxen               // 00000000510C: E0502000 80053203
	buffer_load_dword v51, v4, s[20:23], 0 idxen               // 000000005114: E0502000 80053304
	s_waitcnt lgkmcnt(0)                                       // 00000000511C: BF8CC07F
	s_barrier                                                  // 000000005120: BF8A0000
	ds_read_b128 a[80:83], v28                                 // 000000005124: DBFE0000 5000001C
	ds_read_b128 a[84:87], v28 offset:512                      // 00000000512C: DBFE0200 5400001C
	s_add_u32 s60, 64, s59                                     // 000000005134: 803C3BC0
	s_cmp_lt_u32 s60, s58                                      // 000000005138: BF0A3A3C
	s_cselect_b32 s68, s68, 0                                  // 00000000513C: 85448044
	s_add_u32 s8, s68, s8                                      // 000000005140: 80080844
	s_addc_u32 s9, 0, s9                                       // 000000005144: 82090980
	s_add_u32 s20, s68, s20                                    // 000000005148: 80141444
	s_addc_u32 s21, 0, s21                                     // 00000000514C: 82151580
	s_waitcnt vmcnt(16) lgkmcnt(0)                             // 000000005150: BF8C4070
	s_barrier                                                  // 000000005154: BF8A0000
	s_cmp_lt_i32 2, s72                                        // 000000005158: BF044882
	s_cbranch_scc1 label_0460                                  // 00000000515C: BF850008
	v_mov_b32_e32 v196, 0                                      // 000000005160: 7F880280
	v_mov_b32_e32 v197, 0                                      // 000000005164: 7F8A0280
	v_mov_b32_e32 v198, 0                                      // 000000005168: 7F8C0280
	v_mov_b32_e32 v199, 0                                      // 00000000516C: 7F8E0280
	v_mov_b32_e32 v200, 0                                      // 000000005170: 7F900280
	v_mov_b32_e32 v201, 0                                      // 000000005174: 7F920280
	v_mov_b32_e32 v202, 0                                      // 000000005178: 7F940280
	v_mov_b32_e32 v203, 0                                      // 00000000517C: 7F960280

0000000000005180 <label_0460>:
	ds_write_b32 v17, v196                                     // 000000005180: D81A0000 0000C411
	ds_write_b32 v17, v197 offset:1056                         // 000000005188: D81A0420 0000C511
	ds_write_b32 v17, v198 offset:2176                         // 000000005190: D81A0880 0000C611
	ds_write_b32 v17, v199 offset:3232                         // 000000005198: D81A0CA0 0000C711
	ds_write_b32 v17, v200 offset:4352                         // 0000000051A0: D81A1100 0000C811
	ds_write_b32 v17, v201 offset:5408                         // 0000000051A8: D81A1520 0000C911
	ds_write_b32 v17, v202 offset:6528                         // 0000000051B0: D81A1980 0000CA11
	ds_write_b32 v17, v203 offset:7584                         // 0000000051B8: D81A1DA0 0000CB11
	s_waitcnt lgkmcnt(0)                                       // 0000000051C0: BF8CC07F
	s_barrier                                                  // 0000000051C4: BF8A0000
	ds_read_b128 a[88:91], v28                                 // 0000000051C8: DBFE0000 5800001C
	ds_read_b128 a[92:95], v28 offset:512                      // 0000000051D0: DBFE0200 5C00001C
	s_waitcnt vmcnt(8) lgkmcnt(0)                              // 0000000051D8: BF8C0078
	s_barrier                                                  // 0000000051DC: BF8A0000
	buffer_load_dword v15, s[24:27], 0 idxen lds               // 0000000051E0: E0512000 8006000F
	s_mov_b32 m0, s81                                          // 0000000051E8: BEFC0051
	v_add_u32_e32 v15, s69, v15                                // 0000000051EC: 681E1E45
	v_perm_b32 v100, v37, v36, s63                             // 0000000051F0: D1ED0064 00FE4925
	v_perm_b32 v101, v37, v36, s64                             // 0000000051F8: D1ED0065 01024925
	v_perm_b32 v102, v39, v38, s63                             // 000000005200: D1ED0066 00FE4D27
	v_perm_b32 v103, v39, v38, s64                             // 000000005208: D1ED0067 01024D27
	ds_write_b32 v19, v100 offset:4352                         // 000000005210: D81A1100 00006413
	ds_write_b32 v19, v101 offset:5408                         // 000000005218: D81A1520 00006513
	ds_write_b32 v19, v102 offset:6528                         // 000000005220: D81A1980 00006613
	ds_write_b32 v19, v103 offset:7584                         // 000000005228: D81A1DA0 00006713
	ds_write_b32 v17, v36                                      // 000000005230: D81A0000 00002411
	ds_write_b32 v17, v37 offset:1056                          // 000000005238: D81A0420 00002511
	ds_write_b32 v17, v38 offset:2176                          // 000000005240: D81A0880 00002611
	ds_write_b32 v17, v39 offset:3232                          // 000000005248: D81A0CA0 00002711
	buffer_load_dword v15, s[24:27], 0 idxen lds               // 000000005250: E0512000 8006000F
	s_add_u32 s60, 64, s59                                     // 000000005258: 803C3BC0
	s_cmp_lt_u32 s60, s58                                      // 00000000525C: BF0A3A3C
	s_cselect_b32 s69, s69, 0                                  // 000000005260: 85458045
	s_mov_b32 m0, s80                                          // 000000005264: BEFC0050
	v_add_u32_e32 v15, s69, v15                                // 000000005268: 681E1E45
	v_perm_b32 v104, v45, v44, s63                             // 00000000526C: D1ED0068 00FE592D
	v_perm_b32 v105, v45, v44, s64                             // 000000005274: D1ED0069 0102592D
	v_perm_b32 v106, v47, v46, s63                             // 00000000527C: D1ED006A 00FE5D2F
	v_perm_b32 v107, v47, v46, s64                             // 000000005284: D1ED006B 01025D2F
	ds_write_b32 v19, v104 offset:13056                        // 00000000528C: D81A3300 00006813
	ds_write_b32 v19, v105 offset:14112                        // 000000005294: D81A3720 00006913
	ds_write_b32 v19, v106 offset:15232                        // 00000000529C: D81A3B80 00006A13
	ds_write_b32 v19, v107 offset:16288                        // 0000000052A4: D81A3FA0 00006B13
	ds_write_b32 v17, v44 offset:8704                          // 0000000052AC: D81A2200 00002C11
	ds_write_b32 v17, v45 offset:9760                          // 0000000052B4: D81A2620 00002D11
	ds_write_b32 v17, v46 offset:10880                         // 0000000052BC: D81A2A80 00002E11
	ds_write_b32 v17, v47 offset:11936                         // 0000000052C4: D81A2EA0 00002F11
	s_waitcnt vmcnt(1) lgkmcnt(0)                              // 0000000052CC: BF8C0071
	s_barrier                                                  // 0000000052D0: BF8A0000
	ds_read_b128 a[96:99], v16                                 // 0000000052D4: DBFE0000 60000010
	ds_read_b128 a[100:103], v16 offset:512                    // 0000000052DC: DBFE0200 64000010
	ds_read_b128 a[104:107], v16 offset:2176                   // 0000000052E4: DBFE0880 68000010
	ds_read_b128 a[108:111], v16 offset:2688                   // 0000000052EC: DBFE0A80 6C000010
	ds_read_b128 v[108:111], v16 offset:8704                   // 0000000052F4: D9FE2200 6C000010
	ds_read_b128 v[112:115], v16 offset:9216                   // 0000000052FC: D9FE2400 70000010
	ds_read_b128 v[116:119], v16 offset:10880                  // 000000005304: D9FE2A80 74000010
	ds_read_b128 v[120:123], v16 offset:11392                  // 00000000530C: D9FE2C80 78000010
	ds_read_b32 v140, v27 offset:35584                         // 000000005314: D86C8B00 8C00001B
	ds_read_b32 v144, v27 offset:35648                         // 00000000531C: D86C8B40 9000001B
	ds_read_b32 v176, v27 offset:35840                         // 000000005324: D86C8C00 B000001B
	ds_read_b32 v177, v27 offset:35904                         // 00000000532C: D86C8C40 B100001B
	v_accvgpr_write_b32 a112, 0                                // 000000005334: D3D94070 18000080
	v_mov_b32_e32 v180, 0                                      // 00000000533C: 7F680280
	v_accvgpr_write_b32 a113, 0                                // 000000005340: D3D94071 18000080
	v_mov_b32_e32 v181, 0                                      // 000000005348: 7F6A0280
	v_accvgpr_write_b32 a114, 0                                // 00000000534C: D3D94072 18000080
	v_mov_b32_e32 v182, 0                                      // 000000005354: 7F6C0280
	v_accvgpr_write_b32 a115, 0                                // 000000005358: D3D94073 18000080
	v_mov_b32_e32 v183, 0                                      // 000000005360: 7F6E0280
	v_accvgpr_write_b32 a116, 0                                // 000000005364: D3D94074 18000080
	v_mov_b32_e32 v184, 0                                      // 00000000536C: 7F700280
	v_accvgpr_write_b32 a117, 0                                // 000000005370: D3D94075 18000080
	v_mov_b32_e32 v185, 0                                      // 000000005378: 7F720280
	v_accvgpr_write_b32 a118, 0                                // 00000000537C: D3D94076 18000080
	v_mov_b32_e32 v186, 0                                      // 000000005384: 7F740280
	v_accvgpr_write_b32 a119, 0                                // 000000005388: D3D94077 18000080
	v_mov_b32_e32 v187, 0                                      // 000000005390: 7F760280
	v_accvgpr_write_b32 a120, 0                                // 000000005394: D3D94078 18000080
	v_mov_b32_e32 v188, 0                                      // 00000000539C: 7F780280
	v_accvgpr_write_b32 a121, 0                                // 0000000053A0: D3D94079 18000080
	v_mov_b32_e32 v189, 0                                      // 0000000053A8: 7F7A0280
	v_accvgpr_write_b32 a122, 0                                // 0000000053AC: D3D9407A 18000080
	v_mov_b32_e32 v190, 0                                      // 0000000053B4: 7F7C0280
	v_accvgpr_write_b32 a123, 0                                // 0000000053B8: D3D9407B 18000080
	v_mov_b32_e32 v191, 0                                      // 0000000053C0: 7F7E0280
	v_accvgpr_write_b32 a124, 0                                // 0000000053C4: D3D9407C 18000080
	v_mov_b32_e32 v192, 0                                      // 0000000053CC: 7F800280
	v_accvgpr_write_b32 a125, 0                                // 0000000053D0: D3D9407D 18000080
	v_mov_b32_e32 v193, 0                                      // 0000000053D8: 7F820280
	v_accvgpr_write_b32 a126, 0                                // 0000000053DC: D3D9407E 18000080
	v_mov_b32_e32 v194, 0                                      // 0000000053E4: 7F840280
	v_accvgpr_write_b32 a127, 0                                // 0000000053E8: D3D9407F 18000080
	v_mov_b32_e32 v195, 0                                      // 0000000053F0: 7F860280
	v_accvgpr_write_b32 a128, 0                                // 0000000053F4: D3D94080 18000080
	v_mov_b32_e32 v196, 0                                      // 0000000053FC: 7F880280
	v_accvgpr_write_b32 a129, 0                                // 000000005400: D3D94081 18000080
	v_mov_b32_e32 v197, 0                                      // 000000005408: 7F8A0280
	v_accvgpr_write_b32 a130, 0                                // 00000000540C: D3D94082 18000080
	v_mov_b32_e32 v198, 0                                      // 000000005414: 7F8C0280
	v_accvgpr_write_b32 a131, 0                                // 000000005418: D3D94083 18000080
	v_mov_b32_e32 v199, 0                                      // 000000005420: 7F8E0280
	v_accvgpr_write_b32 a132, 0                                // 000000005424: D3D94084 18000080
	v_mov_b32_e32 v200, 0                                      // 00000000542C: 7F900280
	v_accvgpr_write_b32 a133, 0                                // 000000005430: D3D94085 18000080
	v_mov_b32_e32 v201, 0                                      // 000000005438: 7F920280
	v_accvgpr_write_b32 a134, 0                                // 00000000543C: D3D94086 18000080
	v_mov_b32_e32 v202, 0                                      // 000000005444: 7F940280
	v_accvgpr_write_b32 a135, 0                                // 000000005448: D3D94087 18000080
	v_mov_b32_e32 v203, 0                                      // 000000005450: 7F960280
	v_accvgpr_write_b32 a136, 0                                // 000000005454: D3D94088 18000080
	v_mov_b32_e32 v204, 0                                      // 00000000545C: 7F980280
	v_accvgpr_write_b32 a137, 0                                // 000000005460: D3D94089 18000080
	v_mov_b32_e32 v205, 0                                      // 000000005468: 7F9A0280
	v_accvgpr_write_b32 a138, 0                                // 00000000546C: D3D9408A 18000080
	v_mov_b32_e32 v206, 0                                      // 000000005474: 7F9C0280
	v_accvgpr_write_b32 a139, 0                                // 000000005478: D3D9408B 18000080
	v_mov_b32_e32 v207, 0                                      // 000000005480: 7F9E0280
	v_accvgpr_write_b32 a140, 0                                // 000000005484: D3D9408C 18000080
	v_mov_b32_e32 v208, 0                                      // 00000000548C: 7FA00280
	v_accvgpr_write_b32 a141, 0                                // 000000005490: D3D9408D 18000080
	v_mov_b32_e32 v209, 0                                      // 000000005498: 7FA20280
	v_accvgpr_write_b32 a142, 0                                // 00000000549C: D3D9408E 18000080
	v_mov_b32_e32 v210, 0                                      // 0000000054A4: 7FA40280
	v_accvgpr_write_b32 a143, 0                                // 0000000054A8: D3D9408F 18000080
	v_mov_b32_e32 v211, 0                                      // 0000000054B0: 7FA60280
	v_accvgpr_write_b32 a144, 0                                // 0000000054B4: D3D94090 18000080
	v_mov_b32_e32 v212, 0                                      // 0000000054BC: 7FA80280
	v_accvgpr_write_b32 a145, 0                                // 0000000054C0: D3D94091 18000080
	v_mov_b32_e32 v213, 0                                      // 0000000054C8: 7FAA0280
	v_accvgpr_write_b32 a146, 0                                // 0000000054CC: D3D94092 18000080
	v_mov_b32_e32 v214, 0                                      // 0000000054D4: 7FAC0280
	v_accvgpr_write_b32 a147, 0                                // 0000000054D8: D3D94093 18000080
	v_mov_b32_e32 v215, 0                                      // 0000000054E0: 7FAE0280
	v_accvgpr_write_b32 a148, 0                                // 0000000054E4: D3D94094 18000080
	v_mov_b32_e32 v216, 0                                      // 0000000054EC: 7FB00280
	v_accvgpr_write_b32 a149, 0                                // 0000000054F0: D3D94095 18000080
	v_mov_b32_e32 v217, 0                                      // 0000000054F8: 7FB20280
	v_accvgpr_write_b32 a150, 0                                // 0000000054FC: D3D94096 18000080
	v_mov_b32_e32 v218, 0                                      // 000000005504: 7FB40280
	v_accvgpr_write_b32 a151, 0                                // 000000005508: D3D94097 18000080
	v_mov_b32_e32 v219, 0                                      // 000000005510: 7FB60280
	v_accvgpr_write_b32 a152, 0                                // 000000005514: D3D94098 18000080
	v_mov_b32_e32 v220, 0                                      // 00000000551C: 7FB80280
	v_accvgpr_write_b32 a153, 0                                // 000000005520: D3D94099 18000080
	v_mov_b32_e32 v221, 0                                      // 000000005528: 7FBA0280
	v_accvgpr_write_b32 a154, 0                                // 00000000552C: D3D9409A 18000080
	v_mov_b32_e32 v222, 0                                      // 000000005534: 7FBC0280
	v_accvgpr_write_b32 a155, 0                                // 000000005538: D3D9409B 18000080
	v_mov_b32_e32 v223, 0                                      // 000000005540: 7FBE0280
	v_accvgpr_write_b32 a156, 0                                // 000000005544: D3D9409C 18000080
	v_mov_b32_e32 v224, 0                                      // 00000000554C: 7FC00280
	v_accvgpr_write_b32 a157, 0                                // 000000005550: D3D9409D 18000080
	v_mov_b32_e32 v225, 0                                      // 000000005558: 7FC20280
	v_accvgpr_write_b32 a158, 0                                // 00000000555C: D3D9409E 18000080
	v_mov_b32_e32 v226, 0                                      // 000000005564: 7FC40280
	v_accvgpr_write_b32 a159, 0                                // 000000005568: D3D9409F 18000080
	v_mov_b32_e32 v227, 0                                      // 000000005570: 7FC60280
	v_mov_b32_e32 v156, 0                                      // 000000005574: 7F380280
	v_mov_b32_e32 v157, 0                                      // 000000005578: 7F3A0280
	v_mov_b32_e32 v158, 0                                      // 00000000557C: 7F3C0280
	v_mov_b32_e32 v159, 0                                      // 000000005580: 7F3E0280
	v_mov_b32_e32 v160, 0                                      // 000000005584: 7F400280
	v_mov_b32_e32 v161, 0                                      // 000000005588: 7F420280
	v_mov_b32_e32 v162, 0                                      // 00000000558C: 7F440280
	v_mov_b32_e32 v163, 0                                      // 000000005590: 7F460280
	v_mov_b32_e32 v148, 0                                      // 000000005594: 7F280280
	v_mov_b32_e32 v149, 0                                      // 000000005598: 7F2A0280
	v_mov_b32_e32 v150, 0                                      // 00000000559C: 7F2C0280
	v_mov_b32_e32 v151, 0                                      // 0000000055A0: 7F2E0280
	v_mov_b32_e32 v152, 0                                      // 0000000055A4: 7F300280
	v_mov_b32_e32 v153, 0                                      // 0000000055A8: 7F320280
	v_mov_b32_e32 v154, 0                                      // 0000000055AC: 7F340280
	v_mov_b32_e32 v155, 0                                      // 0000000055B0: 7F360280
	s_waitcnt lgkmcnt(0)                                       // 0000000055B4: BF8CC07F
	s_barrier                                                  // 0000000055B8: BF8A0000
	buffer_load_dword v36, v1, s[8:11], 0 idxen                // 0000000055BC: E0502000 80022401
	buffer_load_dword v37, v2, s[8:11], 0 idxen                // 0000000055C4: E0502000 80022502
	buffer_load_dword v38, v3, s[8:11], 0 idxen                // 0000000055CC: E0502000 80022603
	buffer_load_dword v39, v4, s[8:11], 0 idxen                // 0000000055D4: E0502000 80022704
	buffer_load_dword v44, v1, s[20:23], 0 idxen               // 0000000055DC: E0502000 80052C01
	buffer_load_dword v45, v2, s[20:23], 0 idxen               // 0000000055E4: E0502000 80052D02
	buffer_load_dword v46, v3, s[20:23], 0 idxen               // 0000000055EC: E0502000 80052E03
	buffer_load_dword v47, v4, s[20:23], 0 idxen               // 0000000055F4: E0502000 80052F04
	buffer_load_dword v15, s[24:27], 0 idxen lds               // 0000000055FC: E0512000 8006000F
	s_add_u32 s60, 0x60, s59                                   // 000000005604: 803C3BFF 00000060
	s_cmp_lt_u32 s60, s58                                      // 00000000560C: BF0A3A3C
	s_cselect_b32 s68, s68, 0                                  // 000000005610: 85448044
	s_cselect_b32 s69, s69, 0                                  // 000000005614: 85458045
	s_mov_b32 m0, s81                                          // 000000005618: BEFC0051
	v_add_u32_e32 v15, s69, v15                                // 00000000561C: 681E1E45
	s_add_u32 s8, s68, s8                                      // 000000005620: 80080844
	s_addc_u32 s9, 0, s9                                       // 000000005624: 82090980
	s_add_u32 s20, s68, s20                                    // 000000005628: 80141444
	s_addc_u32 s21, 0, s21                                     // 00000000562C: 82151580
	v_mul_f32_e32 v140, s49, v140                              // 000000005630: 0B191831
	v_mul_f32_e32 v144, s49, v144                              // 000000005634: 0B212031
	v_perm_b32 v100, v41, v40, s63                             // 000000005638: D1ED0064 00FE5129
	v_perm_b32 v101, v41, v40, s64                             // 000000005640: D1ED0065 01025129
	v_perm_b32 v102, v43, v42, s63                             // 000000005648: D1ED0066 00FE552B
	v_perm_b32 v103, v43, v42, s64                             // 000000005650: D1ED0067 0102552B
	v_perm_b32 v104, v49, v48, s63                             // 000000005658: D1ED0068 00FE6131
	v_perm_b32 v105, v49, v48, s64                             // 000000005660: D1ED0069 01026131
	v_perm_b32 v106, v51, v50, s63                             // 000000005668: D1ED006A 00FE6533
	v_perm_b32 v107, v51, v50, s64                             // 000000005670: D1ED006B 01026533
	v_mov_b32_dpp v143, v140 quad_perm:[3,3,3,3] row_mask:0xf bank_mask:0xf// 000000005678: 7F1E02FA FF00FF8C
	v_mov_b32_dpp v142, v140 quad_perm:[2,2,2,2] row_mask:0xf bank_mask:0xf// 000000005680: 7F1C02FA FF00AA8C
	v_mov_b32_dpp v141, v140 quad_perm:[1,1,1,1] row_mask:0xf bank_mask:0xf// 000000005688: 7F1A02FA FF00558C
	v_mov_b32_dpp v140, v140 quad_perm:[0,0,0,0] row_mask:0xf bank_mask:0xf// 000000005690: 7F1802FA FF00008C
	v_mov_b32_dpp v147, v144 quad_perm:[3,3,3,3] row_mask:0xf bank_mask:0xf// 000000005698: 7F2602FA FF00FF90
	v_mov_b32_dpp v146, v144 quad_perm:[2,2,2,2] row_mask:0xf bank_mask:0xf// 0000000056A0: 7F2402FA FF00AA90
	v_mov_b32_dpp v145, v144 quad_perm:[1,1,1,1] row_mask:0xf bank_mask:0xf// 0000000056A8: 7F2202FA FF005590
	v_mov_b32_dpp v144, v144 quad_perm:[0,0,0,0] row_mask:0xf bank_mask:0xf// 0000000056B0: 7F2002FA FF000090
	s_waitcnt vmcnt(9)                                         // 0000000056B8: BF8C0F79
	s_barrier                                                  // 0000000056BC: BF8A0000
	s_cmp_lt_i32 s47, 2                                        // 0000000056C0: BF04822F
	s_cbranch_scc0 label_10CF                                  // 0000000056C4: BF840B1D
	s_nop 0                                                    // 0000000056C8: BF800000
	s_nop 0                                                    // 0000000056CC: BF800000
	s_nop 0                                                    // 0000000056D0: BF800000

00000000000056d4 <label_05B5>:
	s_waitcnt lgkmcnt(4)                                       // 0000000056D4: BF8CC47F
	s_barrier                                                  // 0000000056D8: BF8A0000
	v_mfma_f32_16x16x16_bf16 v[52:55], a[96:97], a[0:1], 0     // 0000000056DC: D3E10034 1A020160
	ds_write_b32 v17, v48 offset:8704                          // 0000000056E4: D81A2200 00003011
	ds_write_b32 v17, v49 offset:9760                          // 0000000056EC: D81A2620 00003111
	v_mfma_f32_16x16x16_bf16 v[52:55], a[98:99], a[2:3], v[52:55]// 0000000056F4: D3E10034 1CD20562
	v_mul_f32_e32 v148, s48, v148                              // 0000000056FC: 0B292830
	v_mul_f32_e32 v149, s48, v149                              // 000000005700: 0B2B2A30
	v_mfma_f32_16x16x16_bf16 v[52:55], a[100:101], a[4:5], v[52:55]// 000000005704: D3E10034 1CD20964
	ds_write_b32 v17, v50 offset:10880                         // 00000000570C: D81A2A80 00003211
	ds_write_b32 v17, v51 offset:11936                         // 000000005714: D81A2EA0 00003311
	v_mfma_f32_16x16x16_bf16 v[52:55], a[102:103], a[6:7], v[52:55]// 00000000571C: D3E10034 1CD20D66
	v_mul_f32_e32 v150, s48, v150                              // 000000005724: 0B2D2C30
	v_mul_f32_e32 v151, s48, v151                              // 000000005728: 0B2F2E30
	v_mfma_f32_16x16x16_bf16 v[56:59], a[96:97], a[8:9], 0     // 00000000572C: D3E10038 1A021160
	v_mul_f32_e32 v152, s48, v152                              // 000000005734: 0B313030
	v_mul_f32_e32 v153, s48, v153                              // 000000005738: 0B333230
	v_mfma_f32_16x16x16_bf16 v[56:59], a[98:99], a[10:11], v[56:59]// 00000000573C: D3E10038 1CE21562
	v_mul_f32_e32 v154, s48, v154                              // 000000005744: 0B353430
	v_mul_f32_e32 v155, s48, v155                              // 000000005748: 0B373630
	v_mfma_f32_16x16x16_bf16 v[56:59], a[100:101], a[12:13], v[56:59]// 00000000574C: D3E10038 1CE21964
	v_cmp_u_f32_e64 s[78:79], v148, v148                       // 000000005754: D048004E 00032994
	v_bfe_u32 v228, v148, 16, 1                                // 00000000575C: D1C800E4 02052194
	v_add3_u32 v228, v148, v228, v231                          // 000000005764: D1FF00E4 079FC994
	v_cndmask_b32_e64 v32, v228, v230, s[78:79]                // 00000000576C: D1000020 013BCDE4
	v_lshrrev_b32_e32 v32, 16, v32                             // 000000005774: 20404090
	v_cmp_u_f32_e64 s[78:79], v149, v149                       // 000000005778: D048004E 00032B95
	v_bfe_u32 v228, v149, 16, 1                                // 000000005780: D1C800E4 02052195
	v_add3_u32 v228, v149, v228, v231                          // 000000005788: D1FF00E4 079FC995
	v_cndmask_b32_e64 v33, v228, v230, s[78:79]                // 000000005790: D1000021 013BCDE4
	v_and_or_b32 v148, v33, v229, v32                          // 000000005798: D2010094 0483CB21
	v_cmp_u_f32_e64 s[78:79], v150, v150                       // 0000000057A0: D048004E 00032D96
	v_bfe_u32 v228, v150, 16, 1                                // 0000000057A8: D1C800E4 02052196
	v_add3_u32 v228, v150, v228, v231                          // 0000000057B0: D1FF00E4 079FC996
	v_cndmask_b32_e64 v32, v228, v230, s[78:79]                // 0000000057B8: D1000020 013BCDE4
	v_lshrrev_b32_e32 v32, 16, v32                             // 0000000057C0: 20404090
	v_cmp_u_f32_e64 s[78:79], v151, v151                       // 0000000057C4: D048004E 00032F97
	v_bfe_u32 v228, v151, 16, 1                                // 0000000057CC: D1C800E4 02052197
	v_add3_u32 v228, v151, v228, v231                          // 0000000057D4: D1FF00E4 079FC997
	v_cndmask_b32_e64 v33, v228, v230, s[78:79]                // 0000000057DC: D1000021 013BCDE4
	v_and_or_b32 v149, v33, v229, v32                          // 0000000057E4: D2010095 0483CB21
	v_mfma_f32_16x16x16_bf16 v[56:59], a[102:103], a[14:15], v[56:59]// 0000000057EC: D3E10038 1CE21D66
	v_cmp_u_f32_e64 s[78:79], v152, v152                       // 0000000057F4: D048004E 00033198
	v_bfe_u32 v228, v152, 16, 1                                // 0000000057FC: D1C800E4 02052198
	v_add3_u32 v228, v152, v228, v231                          // 000000005804: D1FF00E4 079FC998
	v_cndmask_b32_e64 v32, v228, v230, s[78:79]                // 00000000580C: D1000020 013BCDE4
	v_lshrrev_b32_e32 v32, 16, v32                             // 000000005814: 20404090
	v_cmp_u_f32_e64 s[78:79], v153, v153                       // 000000005818: D048004E 00033399
	v_bfe_u32 v228, v153, 16, 1                                // 000000005820: D1C800E4 02052199
	v_add3_u32 v228, v153, v228, v231                          // 000000005828: D1FF00E4 079FC999
	v_cndmask_b32_e64 v33, v228, v230, s[78:79]                // 000000005830: D1000021 013BCDE4
	v_and_or_b32 v150, v33, v229, v32                          // 000000005838: D2010096 0483CB21
	v_cmp_u_f32_e64 s[78:79], v154, v154                       // 000000005840: D048004E 0003359A
	v_bfe_u32 v228, v154, 16, 1                                // 000000005848: D1C800E4 0205219A
	v_add3_u32 v228, v154, v228, v231                          // 000000005850: D1FF00E4 079FC99A
	v_cndmask_b32_e64 v32, v228, v230, s[78:79]                // 000000005858: D1000020 013BCDE4
	v_lshrrev_b32_e32 v32, 16, v32                             // 000000005860: 20404090
	v_cmp_u_f32_e64 s[78:79], v155, v155                       // 000000005864: D048004E 0003379B
	v_bfe_u32 v228, v155, 16, 1                                // 00000000586C: D1C800E4 0205219B
	v_add3_u32 v228, v155, v228, v231                          // 000000005874: D1FF00E4 079FC99B
	v_cndmask_b32_e64 v33, v228, v230, s[78:79]                // 00000000587C: D1000021 013BCDE4
	v_and_or_b32 v151, v33, v229, v32                          // 000000005884: D2010097 0483CB21
	v_mfma_f32_16x16x16_bf16 v[60:63], a[96:97], a[16:17], 0   // 00000000588C: D3E1003C 1A022160
	ds_write_b64 v26, v[148:149] offset:31232                  // 000000005894: D89A7A00 0000941A
	v_mfma_f32_16x16x16_bf16 v[60:63], a[98:99], a[18:19], v[60:63]// 00000000589C: D3E1003C 1CF22562
	v_mfma_f32_16x16x16_bf16 v[60:63], a[100:101], a[20:21], v[60:63]// 0000000058A4: D3E1003C 1CF22964
	ds_write_b64 v26, v[150:151] offset:31776                  // 0000000058AC: D89A7C20 0000961A
	v_mfma_f32_16x16x16_bf16 v[60:63], a[102:103], a[22:23], v[60:63]// 0000000058B4: D3E1003C 1CF22D66
	v_mfma_f32_16x16x16_bf16 v[64:67], a[104:105], a[0:1], 0   // 0000000058BC: D3E10040 1A020168
	ds_read_b128 v[124:127], v18 offset:13056                  // 0000000058C4: D9FE3300 7C000012
	ds_write_b32 v17, v40                                      // 0000000058CC: D81A0000 00002811
	v_mfma_f32_16x16x16_bf16 v[64:67], a[106:107], a[2:3], v[64:67]// 0000000058D4: D3E10040 1D02056A
	v_mfma_f32_16x16x16_bf16 v[64:67], a[108:109], a[4:5], v[64:67]// 0000000058DC: D3E10040 1D02096C
	v_mfma_f32_16x16x16_bf16 v[64:67], a[110:111], a[6:7], v[64:67]// 0000000058E4: D3E10040 1D020D6E
	ds_read_b128 v[128:131], v18 offset:13568                  // 0000000058EC: D9FE3500 80000012
	ds_write_b32 v17, v41 offset:1056                          // 0000000058F4: D81A0420 00002911
	v_mfma_f32_16x16x16_bf16 v[68:71], a[104:105], a[8:9], 0   // 0000000058FC: D3E10044 1A021168
	v_mfma_f32_16x16x16_bf16 v[68:71], a[106:107], a[10:11], v[68:71]// 000000005904: D3E10044 1D12156A
	v_mfma_f32_16x16x16_bf16 v[68:71], a[108:109], a[12:13], v[68:71]// 00000000590C: D3E10044 1D12196C
	ds_read_b128 v[132:135], v18 offset:15232                  // 000000005914: D9FE3B80 84000012
	ds_write_b32 v17, v42 offset:2176                          // 00000000591C: D81A0880 00002A11
	v_mfma_f32_16x16x16_bf16 v[68:71], a[110:111], a[14:15], v[68:71]// 000000005924: D3E10044 1D121D6E
	v_mfma_f32_16x16x16_bf16 v[72:75], a[104:105], a[16:17], 0 // 00000000592C: D3E10048 1A022168
	v_mfma_f32_16x16x16_bf16 v[72:75], a[106:107], a[18:19], v[72:75]// 000000005934: D3E10048 1D22256A
	ds_read_b128 v[136:139], v18 offset:15744                  // 00000000593C: D9FE3D80 88000012
	ds_write_b32 v17, v43 offset:3232                          // 000000005944: D81A0CA0 00002B11
	v_mfma_f32_16x16x16_bf16 v[72:75], a[108:109], a[20:21], v[72:75]// 00000000594C: D3E10048 1D22296C
	v_mfma_f32_16x16x16_bf16 v[72:75], a[110:111], a[22:23], v[72:75]// 000000005954: D3E10048 1D222D6E
	s_cmp_lt_i32 s74, 12                                       // 00000000595C: BF048C4A
	s_cbranch_scc0 label_073F                                  // 000000005960: BF8400E6
	s_mov_b32 s60, 0xffe0fffe                                  // 000000005964: BEBC00FF FFE0FFFE
	s_mov_b32 s61, 0xe000fe00                                  // 00000000596C: BEBD00FF E000FE00
	s_nop 0                                                    // 000000005974: BF800000
	s_add_u32 s62, 0, s47                                      // 000000005978: 803E2F80
	s_cmp_lt_i32 s74, s62                                      // 00000000597C: BF043E4A
	s_cbranch_scc1 label_0689                                  // 000000005980: BF850028
	s_cmp_eq_i32 s74, s62                                      // 000000005984: BF003E4A
	s_cbranch_scc1 label_066E                                  // 000000005988: BF85000B
	s_add_u32 s62, 4, s47                                      // 00000000598C: 803E2F84
	s_cmp_lt_i32 s74, s62                                      // 000000005990: BF043E4A
	s_cbranch_scc1 label_06A9                                  // 000000005994: BF850043
	s_cmp_eq_i32 s74, s62                                      // 000000005998: BF003E4A
	s_cbranch_scc1 label_068E                                  // 00000000599C: BF850026
	s_add_u32 s62, 8, s47                                      // 0000000059A0: 803E2F88
	s_cmp_lt_i32 s74, s62                                      // 0000000059A4: BF043E4A
	s_cbranch_scc1 label_06C9                                  // 0000000059A8: BF85005E
	s_cmp_eq_i32 s74, s62                                      // 0000000059AC: BF003E4A
	s_cbranch_scc1 label_06AE                                  // 0000000059B0: BF850041
	s_branch label_06CE                                        // 0000000059B4: BF820060

00000000000059b8 <label_066E>:
	v_cndmask_b32_e64 v52, v52, v178, s[60:61]                 // 0000000059B8: D1000034 00F36534
	s_lshl_b32 s60, s60, 1                                     // 0000000059C0: 8E3C813C
	s_lshl_b32 s61, s61, 1                                     // 0000000059C4: 8E3D813D
	s_and_b32 s60, 0xfffeffff, s60                             // 0000000059C8: 863C3CFF FFFEFFFF
	s_and_b32 s61, 0xfffeffff, s61                             // 0000000059D0: 863D3DFF FFFEFFFF
	v_cndmask_b32_e64 v53, v53, v178, s[60:61]                 // 0000000059D8: D1000035 00F36535
	s_lshl_b32 s60, s60, 1                                     // 0000000059E0: 8E3C813C
	s_lshl_b32 s61, s61, 1                                     // 0000000059E4: 8E3D813D
	s_and_b32 s60, 0xfffeffff, s60                             // 0000000059E8: 863C3CFF FFFEFFFF
	s_and_b32 s61, 0xfffeffff, s61                             // 0000000059F0: 863D3DFF FFFEFFFF
	v_cndmask_b32_e64 v54, v54, v178, s[60:61]                 // 0000000059F8: D1000036 00F36536
	s_lshl_b32 s60, s60, 1                                     // 000000005A00: 8E3C813C
	s_lshl_b32 s61, s61, 1                                     // 000000005A04: 8E3D813D
	s_and_b32 s60, 0xfffeffff, s60                             // 000000005A08: 863C3CFF FFFEFFFF
	s_and_b32 s61, 0xfffeffff, s61                             // 000000005A10: 863D3DFF FFFEFFFF
	v_cndmask_b32_e64 v55, v55, v178, s[60:61]                 // 000000005A18: D1000037 00F36537
	s_branch label_06A9                                        // 000000005A20: BF820020

0000000000005a24 <label_0689>:
	v_mov_b32_e32 v52, v178                                    // 000000005A24: 7E6803B2
	v_mov_b32_e32 v53, v178                                    // 000000005A28: 7E6A03B2
	v_mov_b32_e32 v54, v178                                    // 000000005A2C: 7E6C03B2
	v_mov_b32_e32 v55, v178                                    // 000000005A30: 7E6E03B2
	s_branch label_06A9                                        // 000000005A34: BF82001B

0000000000005a38 <label_068E>:
	v_cndmask_b32_e64 v56, v56, v178, s[60:61]                 // 000000005A38: D1000038 00F36538
	s_lshl_b32 s60, s60, 1                                     // 000000005A40: 8E3C813C
	s_lshl_b32 s61, s61, 1                                     // 000000005A44: 8E3D813D
	s_and_b32 s60, 0xfffeffff, s60                             // 000000005A48: 863C3CFF FFFEFFFF
	s_and_b32 s61, 0xfffeffff, s61                             // 000000005A50: 863D3DFF FFFEFFFF
	v_cndmask_b32_e64 v57, v57, v178, s[60:61]                 // 000000005A58: D1000039 00F36539
	s_lshl_b32 s60, s60, 1                                     // 000000005A60: 8E3C813C
	s_lshl_b32 s61, s61, 1                                     // 000000005A64: 8E3D813D
	s_and_b32 s60, 0xfffeffff, s60                             // 000000005A68: 863C3CFF FFFEFFFF
	s_and_b32 s61, 0xfffeffff, s61                             // 000000005A70: 863D3DFF FFFEFFFF
	v_cndmask_b32_e64 v58, v58, v178, s[60:61]                 // 000000005A78: D100003A 00F3653A
	s_lshl_b32 s60, s60, 1                                     // 000000005A80: 8E3C813C
	s_lshl_b32 s61, s61, 1                                     // 000000005A84: 8E3D813D
	s_and_b32 s60, 0xfffeffff, s60                             // 000000005A88: 863C3CFF FFFEFFFF
	s_and_b32 s61, 0xfffeffff, s61                             // 000000005A90: 863D3DFF FFFEFFFF
	v_cndmask_b32_e64 v59, v59, v178, s[60:61]                 // 000000005A98: D100003B 00F3653B
	s_branch label_06C9                                        // 000000005AA0: BF820020

0000000000005aa4 <label_06A9>:
	v_mov_b32_e32 v56, v178                                    // 000000005AA4: 7E7003B2
	v_mov_b32_e32 v57, v178                                    // 000000005AA8: 7E7203B2
	v_mov_b32_e32 v58, v178                                    // 000000005AAC: 7E7403B2
	v_mov_b32_e32 v59, v178                                    // 000000005AB0: 7E7603B2
	s_branch label_06C9                                        // 000000005AB4: BF82001B

0000000000005ab8 <label_06AE>:
	v_cndmask_b32_e64 v60, v60, v178, s[60:61]                 // 000000005AB8: D100003C 00F3653C
	s_lshl_b32 s60, s60, 1                                     // 000000005AC0: 8E3C813C
	s_lshl_b32 s61, s61, 1                                     // 000000005AC4: 8E3D813D
	s_and_b32 s60, 0xfffeffff, s60                             // 000000005AC8: 863C3CFF FFFEFFFF
	s_and_b32 s61, 0xfffeffff, s61                             // 000000005AD0: 863D3DFF FFFEFFFF
	v_cndmask_b32_e64 v61, v61, v178, s[60:61]                 // 000000005AD8: D100003D 00F3653D
	s_lshl_b32 s60, s60, 1                                     // 000000005AE0: 8E3C813C
	s_lshl_b32 s61, s61, 1                                     // 000000005AE4: 8E3D813D
	s_and_b32 s60, 0xfffeffff, s60                             // 000000005AE8: 863C3CFF FFFEFFFF
	s_and_b32 s61, 0xfffeffff, s61                             // 000000005AF0: 863D3DFF FFFEFFFF
	v_cndmask_b32_e64 v62, v62, v178, s[60:61]                 // 000000005AF8: D100003E 00F3653E
	s_lshl_b32 s60, s60, 1                                     // 000000005B00: 8E3C813C
	s_lshl_b32 s61, s61, 1                                     // 000000005B04: 8E3D813D
	s_and_b32 s60, 0xfffeffff, s60                             // 000000005B08: 863C3CFF FFFEFFFF
	s_and_b32 s61, 0xfffeffff, s61                             // 000000005B10: 863D3DFF FFFEFFFF
	v_cndmask_b32_e64 v63, v63, v178, s[60:61]                 // 000000005B18: D100003F 00F3653F
	s_branch label_06CE                                        // 000000005B20: BF820005

0000000000005b24 <label_06C9>:
	v_mov_b32_e32 v60, v178                                    // 000000005B24: 7E7803B2
	v_mov_b32_e32 v61, v178                                    // 000000005B28: 7E7A03B2
	v_mov_b32_e32 v62, v178                                    // 000000005B2C: 7E7C03B2
	v_mov_b32_e32 v63, v178                                    // 000000005B30: 7E7E03B2
	s_branch label_06CE                                        // 000000005B34: BF820000

0000000000005b38 <label_06CE>:
	s_addk_i32 s74, 0x1                                        // 000000005B38: B74A0001
	s_add_u32 s62, 0, s47                                      // 000000005B3C: 803E2F80
	s_cmp_lt_i32 s74, s62                                      // 000000005B40: BF043E4A
	s_cbranch_scc1 label_06FA                                  // 000000005B44: BF850028
	s_cmp_eq_i32 s74, s62                                      // 000000005B48: BF003E4A
	s_cbranch_scc1 label_06DF                                  // 000000005B4C: BF85000B
	s_add_u32 s62, 4, s47                                      // 000000005B50: 803E2F84
	s_cmp_lt_i32 s74, s62                                      // 000000005B54: BF043E4A
	s_cbranch_scc1 label_071A                                  // 000000005B58: BF850043
	s_cmp_eq_i32 s74, s62                                      // 000000005B5C: BF003E4A
	s_cbranch_scc1 label_06FF                                  // 000000005B60: BF850026
	s_add_u32 s62, 8, s47                                      // 000000005B64: 803E2F88
	s_cmp_lt_i32 s74, s62                                      // 000000005B68: BF043E4A
	s_cbranch_scc1 label_073A                                  // 000000005B6C: BF85005E
	s_cmp_eq_i32 s74, s62                                      // 000000005B70: BF003E4A
	s_cbranch_scc1 label_071F                                  // 000000005B74: BF850041
	s_branch label_073F                                        // 000000005B78: BF820060

0000000000005b7c <label_06DF>:
	v_cndmask_b32_e64 v64, v64, v178, s[60:61]                 // 000000005B7C: D1000040 00F36540
	s_lshl_b32 s60, s60, 1                                     // 000000005B84: 8E3C813C
	s_lshl_b32 s61, s61, 1                                     // 000000005B88: 8E3D813D
	s_and_b32 s60, 0xfffeffff, s60                             // 000000005B8C: 863C3CFF FFFEFFFF
	s_and_b32 s61, 0xfffeffff, s61                             // 000000005B94: 863D3DFF FFFEFFFF
	v_cndmask_b32_e64 v65, v65, v178, s[60:61]                 // 000000005B9C: D1000041 00F36541
	s_lshl_b32 s60, s60, 1                                     // 000000005BA4: 8E3C813C
	s_lshl_b32 s61, s61, 1                                     // 000000005BA8: 8E3D813D
	s_and_b32 s60, 0xfffeffff, s60                             // 000000005BAC: 863C3CFF FFFEFFFF
	s_and_b32 s61, 0xfffeffff, s61                             // 000000005BB4: 863D3DFF FFFEFFFF
	v_cndmask_b32_e64 v66, v66, v178, s[60:61]                 // 000000005BBC: D1000042 00F36542
	s_lshl_b32 s60, s60, 1                                     // 000000005BC4: 8E3C813C
	s_lshl_b32 s61, s61, 1                                     // 000000005BC8: 8E3D813D
	s_and_b32 s60, 0xfffeffff, s60                             // 000000005BCC: 863C3CFF FFFEFFFF
	s_and_b32 s61, 0xfffeffff, s61                             // 000000005BD4: 863D3DFF FFFEFFFF
	v_cndmask_b32_e64 v67, v67, v178, s[60:61]                 // 000000005BDC: D1000043 00F36543
	s_branch label_071A                                        // 000000005BE4: BF820020

0000000000005be8 <label_06FA>:
	v_mov_b32_e32 v64, v178                                    // 000000005BE8: 7E8003B2
	v_mov_b32_e32 v65, v178                                    // 000000005BEC: 7E8203B2
	v_mov_b32_e32 v66, v178                                    // 000000005BF0: 7E8403B2
	v_mov_b32_e32 v67, v178                                    // 000000005BF4: 7E8603B2
	s_branch label_071A                                        // 000000005BF8: BF82001B

0000000000005bfc <label_06FF>:
	v_cndmask_b32_e64 v68, v68, v178, s[60:61]                 // 000000005BFC: D1000044 00F36544
	s_lshl_b32 s60, s60, 1                                     // 000000005C04: 8E3C813C
	s_lshl_b32 s61, s61, 1                                     // 000000005C08: 8E3D813D
	s_and_b32 s60, 0xfffeffff, s60                             // 000000005C0C: 863C3CFF FFFEFFFF
	s_and_b32 s61, 0xfffeffff, s61                             // 000000005C14: 863D3DFF FFFEFFFF
	v_cndmask_b32_e64 v69, v69, v178, s[60:61]                 // 000000005C1C: D1000045 00F36545
	s_lshl_b32 s60, s60, 1                                     // 000000005C24: 8E3C813C
	s_lshl_b32 s61, s61, 1                                     // 000000005C28: 8E3D813D
	s_and_b32 s60, 0xfffeffff, s60                             // 000000005C2C: 863C3CFF FFFEFFFF
	s_and_b32 s61, 0xfffeffff, s61                             // 000000005C34: 863D3DFF FFFEFFFF
	v_cndmask_b32_e64 v70, v70, v178, s[60:61]                 // 000000005C3C: D1000046 00F36546
	s_lshl_b32 s60, s60, 1                                     // 000000005C44: 8E3C813C
	s_lshl_b32 s61, s61, 1                                     // 000000005C48: 8E3D813D
	s_and_b32 s60, 0xfffeffff, s60                             // 000000005C4C: 863C3CFF FFFEFFFF
	s_and_b32 s61, 0xfffeffff, s61                             // 000000005C54: 863D3DFF FFFEFFFF
	v_cndmask_b32_e64 v71, v71, v178, s[60:61]                 // 000000005C5C: D1000047 00F36547
	s_branch label_073A                                        // 000000005C64: BF820020

0000000000005c68 <label_071A>:
	v_mov_b32_e32 v68, v178                                    // 000000005C68: 7E8803B2
	v_mov_b32_e32 v69, v178                                    // 000000005C6C: 7E8A03B2
	v_mov_b32_e32 v70, v178                                    // 000000005C70: 7E8C03B2
	v_mov_b32_e32 v71, v178                                    // 000000005C74: 7E8E03B2
	s_branch label_073A                                        // 000000005C78: BF82001B

0000000000005c7c <label_071F>:
	v_cndmask_b32_e64 v72, v72, v178, s[60:61]                 // 000000005C7C: D1000048 00F36548
	s_lshl_b32 s60, s60, 1                                     // 000000005C84: 8E3C813C
	s_lshl_b32 s61, s61, 1                                     // 000000005C88: 8E3D813D
	s_and_b32 s60, 0xfffeffff, s60                             // 000000005C8C: 863C3CFF FFFEFFFF
	s_and_b32 s61, 0xfffeffff, s61                             // 000000005C94: 863D3DFF FFFEFFFF
	v_cndmask_b32_e64 v73, v73, v178, s[60:61]                 // 000000005C9C: D1000049 00F36549
	s_lshl_b32 s60, s60, 1                                     // 000000005CA4: 8E3C813C
	s_lshl_b32 s61, s61, 1                                     // 000000005CA8: 8E3D813D
	s_and_b32 s60, 0xfffeffff, s60                             // 000000005CAC: 863C3CFF FFFEFFFF
	s_and_b32 s61, 0xfffeffff, s61                             // 000000005CB4: 863D3DFF FFFEFFFF
	v_cndmask_b32_e64 v74, v74, v178, s[60:61]                 // 000000005CBC: D100004A 00F3654A
	s_lshl_b32 s60, s60, 1                                     // 000000005CC4: 8E3C813C
	s_lshl_b32 s61, s61, 1                                     // 000000005CC8: 8E3D813D
	s_and_b32 s60, 0xfffeffff, s60                             // 000000005CCC: 863C3CFF FFFEFFFF
	s_and_b32 s61, 0xfffeffff, s61                             // 000000005CD4: 863D3DFF FFFEFFFF
	v_cndmask_b32_e64 v75, v75, v178, s[60:61]                 // 000000005CDC: D100004B 00F3654B
	s_branch label_073F                                        // 000000005CE4: BF820005

0000000000005ce8 <label_073A>:
	v_mov_b32_e32 v72, v178                                    // 000000005CE8: 7E9003B2
	v_mov_b32_e32 v73, v178                                    // 000000005CEC: 7E9203B2
	v_mov_b32_e32 v74, v178                                    // 000000005CF0: 7E9403B2
	v_mov_b32_e32 v75, v178                                    // 000000005CF4: 7E9603B2
	s_branch label_073F                                        // 000000005CF8: BF820000

0000000000005cfc <label_073F>:
	s_addk_i32 s74, 0x1                                        // 000000005CFC: B74A0001
	s_waitcnt lgkmcnt(8)                                       // 000000005D00: BF8CC87F
	s_barrier                                                  // 000000005D04: BF8A0000
	v_mfma_f32_16x16x16_bf16 v[76:79], v[108:109], a[72:73], 0 // 000000005D08: D3E1004C 1202916C
	ds_read_b128 a[96:99], v18 offset:4352                     // 000000005D10: DBFE1100 60000012
	ds_read_b128 a[100:103], v18 offset:4864                   // 000000005D18: DBFE1300 64000012
	v_mfma_f32_16x16x16_bf16 v[76:79], v[110:111], a[74:75], v[76:79]// 000000005D20: D3E1004C 1532956E
	v_fma_f32 v52, v52, s57, -v140                             // 000000005D28: D1CB0034 86307334
	v_fma_f32 v53, v53, s57, -v141                             // 000000005D30: D1CB0035 86347335
	v_fma_f32 v54, v54, s57, -v142                             // 000000005D38: D1CB0036 86387336
	v_fma_f32 v55, v55, s57, -v143                             // 000000005D40: D1CB0037 863C7337
	v_fma_f32 v56, v56, s57, -v140                             // 000000005D48: D1CB0038 86307338
	v_fma_f32 v57, v57, s57, -v141                             // 000000005D50: D1CB0039 86347339
	v_mfma_f32_16x16x16_bf16 v[76:79], v[112:113], a[76:77], v[76:79]// 000000005D58: D3E1004C 15329970
	v_fma_f32 v58, v58, s57, -v142                             // 000000005D60: D1CB003A 8638733A
	v_fma_f32 v59, v59, s57, -v143                             // 000000005D68: D1CB003B 863C733B
	v_fma_f32 v60, v60, s57, -v140                             // 000000005D70: D1CB003C 8630733C
	v_fma_f32 v61, v61, s57, -v141                             // 000000005D78: D1CB003D 8634733D
	v_fma_f32 v62, v62, s57, -v142                             // 000000005D80: D1CB003E 8638733E
	v_fma_f32 v63, v63, s57, -v143                             // 000000005D88: D1CB003F 863C733F
	v_mfma_f32_16x16x16_bf16 v[76:79], v[114:115], a[78:79], v[76:79]// 000000005D90: D3E1004C 15329D72
	v_fma_f32 v64, v64, s57, -v144                             // 000000005D98: D1CB0040 86407340
	v_fma_f32 v65, v65, s57, -v145                             // 000000005DA0: D1CB0041 86447341
	v_fma_f32 v66, v66, s57, -v146                             // 000000005DA8: D1CB0042 86487342
	v_fma_f32 v67, v67, s57, -v147                             // 000000005DB0: D1CB0043 864C7343
	v_fma_f32 v68, v68, s57, -v144                             // 000000005DB8: D1CB0044 86407344
	v_fma_f32 v69, v69, s57, -v145                             // 000000005DC0: D1CB0045 86447345
	v_mfma_f32_16x16x16_bf16 v[80:83], v[108:109], a[80:81], 0 // 000000005DC8: D3E10050 1202A16C
	ds_read_b128 a[104:107], v18 offset:6528                   // 000000005DD0: DBFE1980 68000012
	ds_read_b128 a[108:111], v18 offset:7040                   // 000000005DD8: DBFE1B80 6C000012
	v_mfma_f32_16x16x16_bf16 v[80:83], v[110:111], a[82:83], v[80:83]// 000000005DE0: D3E10050 1542A56E
	v_fma_f32 v70, v70, s57, -v146                             // 000000005DE8: D1CB0046 86487346
	v_fma_f32 v71, v71, s57, -v147                             // 000000005DF0: D1CB0047 864C7347
	v_fma_f32 v72, v72, s57, -v144                             // 000000005DF8: D1CB0048 86407348
	v_fma_f32 v73, v73, s57, -v145                             // 000000005E00: D1CB0049 86447349
	v_fma_f32 v74, v74, s57, -v146                             // 000000005E08: D1CB004A 8648734A
	v_fma_f32 v75, v75, s57, -v147                             // 000000005E10: D1CB004B 864C734B
	v_mfma_f32_16x16x16_bf16 v[80:83], v[112:113], a[84:85], v[80:83]// 000000005E18: D3E10050 1542A970
	v_exp_f32_e32 v52, v52                                     // 000000005E20: 7E684134
	v_exp_f32_e32 v53, v53                                     // 000000005E24: 7E6A4135
	v_mfma_f32_16x16x16_bf16 v[80:83], v[114:115], a[86:87], v[80:83]// 000000005E28: D3E10050 1542AD72
	v_exp_f32_e32 v54, v54                                     // 000000005E30: 7E6C4136
	v_exp_f32_e32 v55, v55                                     // 000000005E34: 7E6E4137
	v_mfma_f32_16x16x16_bf16 v[84:87], v[108:109], a[88:89], 0 // 000000005E38: D3E10054 1202B16C
	ds_read_b32 v156, v25 offset:31232                         // 000000005E40: D86C7A00 9C000019
	ds_read_b32 v157, v25 offset:31248                         // 000000005E48: D86C7A10 9D000019
	v_mfma_f32_16x16x16_bf16 v[84:87], v[110:111], a[90:91], v[84:87]// 000000005E50: D3E10054 1552B56E
	v_exp_f32_e32 v56, v56                                     // 000000005E58: 7E704138
	v_exp_f32_e32 v57, v57                                     // 000000005E5C: 7E724139
	v_mfma_f32_16x16x16_bf16 v[84:87], v[112:113], a[92:93], v[84:87]// 000000005E60: D3E10054 1552B970
	ds_read_b32 v158, v25 offset:31264                         // 000000005E68: D86C7A20 9E000019
	ds_read_b32 v159, v25 offset:31280                         // 000000005E70: D86C7A30 9F000019
	v_mfma_f32_16x16x16_bf16 v[84:87], v[114:115], a[94:95], v[84:87]// 000000005E78: D3E10054 1552BD72
	v_exp_f32_e32 v58, v58                                     // 000000005E80: 7E74413A
	v_exp_f32_e32 v59, v59                                     // 000000005E84: 7E76413B
	v_mfma_f32_16x16x16_bf16 v[88:91], v[116:117], a[72:73], 0 // 000000005E88: D3E10058 12029174
	v_exp_f32_e32 v60, v60                                     // 000000005E90: 7E78413C
	v_exp_f32_e32 v61, v61                                     // 000000005E94: 7E7A413D
	v_mfma_f32_16x16x16_bf16 v[88:91], v[118:119], a[74:75], v[88:91]// 000000005E98: D3E10058 15629576
	v_exp_f32_e32 v62, v62                                     // 000000005EA0: 7E7C413E
	v_exp_f32_e32 v63, v63                                     // 000000005EA4: 7E7E413F
	v_mfma_f32_16x16x16_bf16 v[88:91], v[120:121], a[76:77], v[88:91]// 000000005EA8: D3E10058 15629978
	v_exp_f32_e32 v64, v64                                     // 000000005EB0: 7E804140
	v_exp_f32_e32 v65, v65                                     // 000000005EB4: 7E824141
	v_mfma_f32_16x16x16_bf16 v[88:91], v[122:123], a[78:79], v[88:91]// 000000005EB8: D3E10058 15629D7A
	v_exp_f32_e32 v66, v66                                     // 000000005EC0: 7E844142
	v_exp_f32_e32 v67, v67                                     // 000000005EC4: 7E864143
	v_mfma_f32_16x16x16_bf16 v[92:95], v[116:117], a[80:81], 0 // 000000005EC8: D3E1005C 1202A174
	v_exp_f32_e32 v68, v68                                     // 000000005ED0: 7E884144
	v_exp_f32_e32 v69, v69                                     // 000000005ED4: 7E8A4145
	v_mfma_f32_16x16x16_bf16 v[92:95], v[118:119], a[82:83], v[92:95]// 000000005ED8: D3E1005C 1572A576
	v_exp_f32_e32 v70, v70                                     // 000000005EE0: 7E8C4146
	v_exp_f32_e32 v71, v71                                     // 000000005EE4: 7E8E4147
	v_mfma_f32_16x16x16_bf16 v[92:95], v[120:121], a[84:85], v[92:95]// 000000005EE8: D3E1005C 1572A978
	v_exp_f32_e32 v72, v72                                     // 000000005EF0: 7E904148
	v_exp_f32_e32 v73, v73                                     // 000000005EF4: 7E924149
	v_mfma_f32_16x16x16_bf16 v[92:95], v[122:123], a[86:87], v[92:95]// 000000005EF8: D3E1005C 1572AD7A
	v_exp_f32_e32 v74, v74                                     // 000000005F00: 7E94414A
	v_exp_f32_e32 v75, v75                                     // 000000005F04: 7E96414B
	v_mfma_f32_16x16x16_bf16 v[96:99], v[116:117], a[88:89], 0 // 000000005F08: D3E10060 1202B174
	v_cmp_u_f32_e64 s[78:79], v52, v52                         // 000000005F10: D048004E 00026934
	v_bfe_u32 v228, v52, 16, 1                                 // 000000005F18: D1C800E4 02052134
	v_add3_u32 v228, v52, v228, v231                           // 000000005F20: D1FF00E4 079FC934
	v_cndmask_b32_e64 v32, v228, v230, s[78:79]                // 000000005F28: D1000020 013BCDE4
	v_lshrrev_b32_e32 v32, 16, v32                             // 000000005F30: 20404090
	v_cmp_u_f32_e64 s[78:79], v53, v53                         // 000000005F34: D048004E 00026B35
	v_bfe_u32 v228, v53, 16, 1                                 // 000000005F3C: D1C800E4 02052135
	v_add3_u32 v228, v53, v228, v231                           // 000000005F44: D1FF00E4 079FC935
	v_cndmask_b32_e64 v33, v228, v230, s[78:79]                // 000000005F4C: D1000021 013BCDE4
	v_and_or_b32 v164, v33, v229, v32                          // 000000005F54: D20100A4 0483CB21
	v_cmp_u_f32_e64 s[78:79], v54, v54                         // 000000005F5C: D048004E 00026D36
	v_bfe_u32 v228, v54, 16, 1                                 // 000000005F64: D1C800E4 02052136
	v_add3_u32 v228, v54, v228, v231                           // 000000005F6C: D1FF00E4 079FC936
	v_cndmask_b32_e64 v32, v228, v230, s[78:79]                // 000000005F74: D1000020 013BCDE4
	v_lshrrev_b32_e32 v32, 16, v32                             // 000000005F7C: 20404090
	v_cmp_u_f32_e64 s[78:79], v55, v55                         // 000000005F80: D048004E 00026F37
	v_bfe_u32 v228, v55, 16, 1                                 // 000000005F88: D1C800E4 02052137
	v_add3_u32 v228, v55, v228, v231                           // 000000005F90: D1FF00E4 079FC937
	v_cndmask_b32_e64 v33, v228, v230, s[78:79]                // 000000005F98: D1000021 013BCDE4
	v_and_or_b32 v165, v33, v229, v32                          // 000000005FA0: D20100A5 0483CB21
	v_cmp_u_f32_e64 s[78:79], v56, v56                         // 000000005FA8: D048004E 00027138
	v_bfe_u32 v228, v56, 16, 1                                 // 000000005FB0: D1C800E4 02052138
	v_add3_u32 v228, v56, v228, v231                           // 000000005FB8: D1FF00E4 079FC938
	v_cndmask_b32_e64 v32, v228, v230, s[78:79]                // 000000005FC0: D1000020 013BCDE4
	v_lshrrev_b32_e32 v32, 16, v32                             // 000000005FC8: 20404090
	v_cmp_u_f32_e64 s[78:79], v57, v57                         // 000000005FCC: D048004E 00027339
	v_bfe_u32 v228, v57, 16, 1                                 // 000000005FD4: D1C800E4 02052139
	v_add3_u32 v228, v57, v228, v231                           // 000000005FDC: D1FF00E4 079FC939
	v_cndmask_b32_e64 v33, v228, v230, s[78:79]                // 000000005FE4: D1000021 013BCDE4
	v_and_or_b32 v166, v33, v229, v32                          // 000000005FEC: D20100A6 0483CB21
	v_cmp_u_f32_e64 s[78:79], v58, v58                         // 000000005FF4: D048004E 0002753A
	v_bfe_u32 v228, v58, 16, 1                                 // 000000005FFC: D1C800E4 0205213A
	v_add3_u32 v228, v58, v228, v231                           // 000000006004: D1FF00E4 079FC93A
	v_cndmask_b32_e64 v32, v228, v230, s[78:79]                // 00000000600C: D1000020 013BCDE4
	v_lshrrev_b32_e32 v32, 16, v32                             // 000000006014: 20404090
	v_cmp_u_f32_e64 s[78:79], v59, v59                         // 000000006018: D048004E 0002773B
	v_bfe_u32 v228, v59, 16, 1                                 // 000000006020: D1C800E4 0205213B
	v_add3_u32 v228, v59, v228, v231                           // 000000006028: D1FF00E4 079FC93B
	v_cndmask_b32_e64 v33, v228, v230, s[78:79]                // 000000006030: D1000021 013BCDE4
	v_and_or_b32 v167, v33, v229, v32                          // 000000006038: D20100A7 0483CB21
	v_cmp_u_f32_e64 s[78:79], v60, v60                         // 000000006040: D048004E 0002793C
	v_bfe_u32 v228, v60, 16, 1                                 // 000000006048: D1C800E4 0205213C
	v_add3_u32 v228, v60, v228, v231                           // 000000006050: D1FF00E4 079FC93C
	v_cndmask_b32_e64 v32, v228, v230, s[78:79]                // 000000006058: D1000020 013BCDE4
	v_lshrrev_b32_e32 v32, 16, v32                             // 000000006060: 20404090
	v_cmp_u_f32_e64 s[78:79], v61, v61                         // 000000006064: D048004E 00027B3D
	v_bfe_u32 v228, v61, 16, 1                                 // 00000000606C: D1C800E4 0205213D
	v_add3_u32 v228, v61, v228, v231                           // 000000006074: D1FF00E4 079FC93D
	v_cndmask_b32_e64 v33, v228, v230, s[78:79]                // 00000000607C: D1000021 013BCDE4
	v_and_or_b32 v168, v33, v229, v32                          // 000000006084: D20100A8 0483CB21
	v_cmp_u_f32_e64 s[78:79], v62, v62                         // 00000000608C: D048004E 00027D3E
	v_bfe_u32 v228, v62, 16, 1                                 // 000000006094: D1C800E4 0205213E
	v_add3_u32 v228, v62, v228, v231                           // 00000000609C: D1FF00E4 079FC93E
	v_cndmask_b32_e64 v32, v228, v230, s[78:79]                // 0000000060A4: D1000020 013BCDE4
	v_lshrrev_b32_e32 v32, 16, v32                             // 0000000060AC: 20404090
	v_cmp_u_f32_e64 s[78:79], v63, v63                         // 0000000060B0: D048004E 00027F3F
	v_bfe_u32 v228, v63, 16, 1                                 // 0000000060B8: D1C800E4 0205213F
	v_add3_u32 v228, v63, v228, v231                           // 0000000060C0: D1FF00E4 079FC93F
	v_cndmask_b32_e64 v33, v228, v230, s[78:79]                // 0000000060C8: D1000021 013BCDE4
	v_and_or_b32 v169, v33, v229, v32                          // 0000000060D0: D20100A9 0483CB21
	v_mfma_f32_16x16x16_bf16 v[96:99], v[118:119], a[90:91], v[96:99]// 0000000060D8: D3E10060 1582B576
	v_cmp_u_f32_e64 s[78:79], v64, v64                         // 0000000060E0: D048004E 00028140
	v_bfe_u32 v228, v64, 16, 1                                 // 0000000060E8: D1C800E4 02052140
	v_add3_u32 v228, v64, v228, v231                           // 0000000060F0: D1FF00E4 079FC940
	v_cndmask_b32_e64 v32, v228, v230, s[78:79]                // 0000000060F8: D1000020 013BCDE4
	v_lshrrev_b32_e32 v32, 16, v32                             // 000000006100: 20404090
	v_cmp_u_f32_e64 s[78:79], v65, v65                         // 000000006104: D048004E 00028341
	v_bfe_u32 v228, v65, 16, 1                                 // 00000000610C: D1C800E4 02052141
	v_add3_u32 v228, v65, v228, v231                           // 000000006114: D1FF00E4 079FC941
	v_cndmask_b32_e64 v33, v228, v230, s[78:79]                // 00000000611C: D1000021 013BCDE4
	v_and_or_b32 v170, v33, v229, v32                          // 000000006124: D20100AA 0483CB21
	v_cmp_u_f32_e64 s[78:79], v66, v66                         // 00000000612C: D048004E 00028542
	v_bfe_u32 v228, v66, 16, 1                                 // 000000006134: D1C800E4 02052142
	v_add3_u32 v228, v66, v228, v231                           // 00000000613C: D1FF00E4 079FC942
	v_cndmask_b32_e64 v32, v228, v230, s[78:79]                // 000000006144: D1000020 013BCDE4
	v_lshrrev_b32_e32 v32, 16, v32                             // 00000000614C: 20404090
	v_cmp_u_f32_e64 s[78:79], v67, v67                         // 000000006150: D048004E 00028743
	v_bfe_u32 v228, v67, 16, 1                                 // 000000006158: D1C800E4 02052143
	v_add3_u32 v228, v67, v228, v231                           // 000000006160: D1FF00E4 079FC943
	v_cndmask_b32_e64 v33, v228, v230, s[78:79]                // 000000006168: D1000021 013BCDE4
	v_and_or_b32 v171, v33, v229, v32                          // 000000006170: D20100AB 0483CB21
	v_cmp_u_f32_e64 s[78:79], v68, v68                         // 000000006178: D048004E 00028944
	v_bfe_u32 v228, v68, 16, 1                                 // 000000006180: D1C800E4 02052144
	v_add3_u32 v228, v68, v228, v231                           // 000000006188: D1FF00E4 079FC944
	v_cndmask_b32_e64 v32, v228, v230, s[78:79]                // 000000006190: D1000020 013BCDE4
	v_lshrrev_b32_e32 v32, 16, v32                             // 000000006198: 20404090
	v_cmp_u_f32_e64 s[78:79], v69, v69                         // 00000000619C: D048004E 00028B45
	v_bfe_u32 v228, v69, 16, 1                                 // 0000000061A4: D1C800E4 02052145
	v_add3_u32 v228, v69, v228, v231                           // 0000000061AC: D1FF00E4 079FC945
	v_cndmask_b32_e64 v33, v228, v230, s[78:79]                // 0000000061B4: D1000021 013BCDE4
	v_and_or_b32 v172, v33, v229, v32                          // 0000000061BC: D20100AC 0483CB21
	v_cmp_u_f32_e64 s[78:79], v70, v70                         // 0000000061C4: D048004E 00028D46
	v_bfe_u32 v228, v70, 16, 1                                 // 0000000061CC: D1C800E4 02052146
	v_add3_u32 v228, v70, v228, v231                           // 0000000061D4: D1FF00E4 079FC946
	v_cndmask_b32_e64 v32, v228, v230, s[78:79]                // 0000000061DC: D1000020 013BCDE4
	v_lshrrev_b32_e32 v32, 16, v32                             // 0000000061E4: 20404090
	v_cmp_u_f32_e64 s[78:79], v71, v71                         // 0000000061E8: D048004E 00028F47
	v_bfe_u32 v228, v71, 16, 1                                 // 0000000061F0: D1C800E4 02052147
	v_add3_u32 v228, v71, v228, v231                           // 0000000061F8: D1FF00E4 079FC947
	v_cndmask_b32_e64 v33, v228, v230, s[78:79]                // 000000006200: D1000021 013BCDE4
	v_and_or_b32 v173, v33, v229, v32                          // 000000006208: D20100AD 0483CB21
	v_cmp_u_f32_e64 s[78:79], v72, v72                         // 000000006210: D048004E 00029148
	v_bfe_u32 v228, v72, 16, 1                                 // 000000006218: D1C800E4 02052148
	v_add3_u32 v228, v72, v228, v231                           // 000000006220: D1FF00E4 079FC948
	v_cndmask_b32_e64 v32, v228, v230, s[78:79]                // 000000006228: D1000020 013BCDE4
	v_lshrrev_b32_e32 v32, 16, v32                             // 000000006230: 20404090
	v_cmp_u_f32_e64 s[78:79], v73, v73                         // 000000006234: D048004E 00029349
	v_bfe_u32 v228, v73, 16, 1                                 // 00000000623C: D1C800E4 02052149
	v_add3_u32 v228, v73, v228, v231                           // 000000006244: D1FF00E4 079FC949
	v_cndmask_b32_e64 v33, v228, v230, s[78:79]                // 00000000624C: D1000021 013BCDE4
	v_and_or_b32 v174, v33, v229, v32                          // 000000006254: D20100AE 0483CB21
	v_cmp_u_f32_e64 s[78:79], v74, v74                         // 00000000625C: D048004E 0002954A
	v_bfe_u32 v228, v74, 16, 1                                 // 000000006264: D1C800E4 0205214A
	v_add3_u32 v228, v74, v228, v231                           // 00000000626C: D1FF00E4 079FC94A
	v_cndmask_b32_e64 v32, v228, v230, s[78:79]                // 000000006274: D1000020 013BCDE4
	v_lshrrev_b32_e32 v32, 16, v32                             // 00000000627C: 20404090
	v_cmp_u_f32_e64 s[78:79], v75, v75                         // 000000006280: D048004E 0002974B
	v_bfe_u32 v228, v75, 16, 1                                 // 000000006288: D1C800E4 0205214B
	v_add3_u32 v228, v75, v228, v231                           // 000000006290: D1FF00E4 079FC94B
	v_cndmask_b32_e64 v33, v228, v230, s[78:79]                // 000000006298: D1000021 013BCDE4
	v_and_or_b32 v175, v33, v229, v32                          // 0000000062A0: D20100AF 0483CB21
	v_mfma_f32_16x16x16_bf16 v[96:99], v[120:121], a[92:93], v[96:99]// 0000000062A8: D3E10060 1582B978
	s_add_u32 s32, s66, s32                                    // 0000000062B0: 80202042
	s_addc_u32 s33, 0, s33                                     // 0000000062B4: 82212180
	v_mfma_f32_16x16x16_bf16 v[96:99], v[122:123], a[94:95], v[96:99]// 0000000062B8: D3E10060 1582BD7A
	s_waitcnt lgkmcnt(0)                                       // 0000000062C0: BF8CC07F
	s_barrier                                                  // 0000000062C4: BF8A0000
	v_mfma_f32_16x16x16_bf16 v[180:183], v[124:125], v[164:165], v[180:183]// 0000000062C8: D3E100B4 06D3497C
	v_subrev_f32_dpp v76, v176, v76 quad_perm:[0,0,0,0] row_mask:0xf bank_mask:0xf// 0000000062D0: 069898FA FF0000B0
	v_subrev_f32_dpp v77, v176, v77 quad_perm:[1,1,1,1] row_mask:0xf bank_mask:0xf// 0000000062D8: 069A9AFA FF0055B0
	v_subrev_f32_dpp v78, v176, v78 quad_perm:[2,2,2,2] row_mask:0xf bank_mask:0xf// 0000000062E0: 069C9CFA FF00AAB0
	v_subrev_f32_dpp v79, v176, v79 quad_perm:[3,3,3,3] row_mask:0xf bank_mask:0xf// 0000000062E8: 069E9EFA FF00FFB0
	v_subrev_f32_dpp v80, v176, v80 quad_perm:[0,0,0,0] row_mask:0xf bank_mask:0xf// 0000000062F0: 06A0A0FA FF0000B0
	v_subrev_f32_dpp v81, v176, v81 quad_perm:[1,1,1,1] row_mask:0xf bank_mask:0xf// 0000000062F8: 06A2A2FA FF0055B0
	v_mfma_f32_16x16x16_bf16 v[184:187], v[126:127], v[164:165], v[184:187]// 000000006300: D3E100B8 06E3497E
	v_subrev_f32_dpp v82, v176, v82 quad_perm:[2,2,2,2] row_mask:0xf bank_mask:0xf// 000000006308: 06A4A4FA FF00AAB0
	v_subrev_f32_dpp v83, v176, v83 quad_perm:[3,3,3,3] row_mask:0xf bank_mask:0xf// 000000006310: 06A6A6FA FF00FFB0
	v_subrev_f32_dpp v84, v176, v84 quad_perm:[0,0,0,0] row_mask:0xf bank_mask:0xf// 000000006318: 06A8A8FA FF0000B0
	v_subrev_f32_dpp v85, v176, v85 quad_perm:[1,1,1,1] row_mask:0xf bank_mask:0xf// 000000006320: 06AAAAFA FF0055B0
	v_subrev_f32_dpp v86, v176, v86 quad_perm:[2,2,2,2] row_mask:0xf bank_mask:0xf// 000000006328: 06ACACFA FF00AAB0
	v_subrev_f32_dpp v87, v176, v87 quad_perm:[3,3,3,3] row_mask:0xf bank_mask:0xf// 000000006330: 06AEAEFA FF00FFB0
	v_mfma_f32_16x16x16_bf16 v[188:191], v[128:129], v[164:165], v[188:191]// 000000006338: D3E100BC 06F34980
	v_mul_f32_e32 v76, v52, v76                                // 000000006340: 0A989934
	v_mul_f32_e32 v77, v53, v77                                // 000000006344: 0A9A9B35
	v_mul_f32_e32 v78, v54, v78                                // 000000006348: 0A9C9D36
	v_mul_f32_e32 v79, v55, v79                                // 00000000634C: 0A9E9F37
	v_mul_f32_e32 v80, v56, v80                                // 000000006350: 0AA0A138
	v_mul_f32_e32 v81, v57, v81                                // 000000006354: 0AA2A339
	v_mfma_f32_16x16x16_bf16 v[192:195], v[130:131], v[164:165], v[192:195]// 000000006358: D3E100C0 07034982
	v_mul_f32_e32 v82, v58, v82                                // 000000006360: 0AA4A53A
	v_mul_f32_e32 v83, v59, v83                                // 000000006364: 0AA6A73B
	v_mul_f32_e32 v84, v60, v84                                // 000000006368: 0AA8A93C
	v_mul_f32_e32 v85, v61, v85                                // 00000000636C: 0AAAAB3D
	v_mul_f32_e32 v86, v62, v86                                // 000000006370: 0AACAD3E
	v_mul_f32_e32 v87, v63, v87                                // 000000006374: 0AAEAF3F
	v_mfma_f32_16x16x16_bf16 v[196:199], v[124:125], v[166:167], v[196:199]// 000000006378: D3E100C4 07134D7C
	v_cmp_u_f32_e64 s[78:79], v76, v76                         // 000000006380: D048004E 0002994C
	v_bfe_u32 v228, v76, 16, 1                                 // 000000006388: D1C800E4 0205214C
	v_add3_u32 v228, v76, v228, v231                           // 000000006390: D1FF00E4 079FC94C
	v_cndmask_b32_e64 v32, v228, v230, s[78:79]                // 000000006398: D1000020 013BCDE4
	v_lshrrev_b32_e32 v32, 16, v32                             // 0000000063A0: 20404090
	v_cmp_u_f32_e64 s[78:79], v77, v77                         // 0000000063A4: D048004E 00029B4D
	v_bfe_u32 v228, v77, 16, 1                                 // 0000000063AC: D1C800E4 0205214D
	v_add3_u32 v228, v77, v228, v231                           // 0000000063B4: D1FF00E4 079FC94D
	v_cndmask_b32_e64 v33, v228, v230, s[78:79]                // 0000000063BC: D1000021 013BCDE4
	v_and_or_b32 v76, v33, v229, v32                           // 0000000063C4: D201004C 0483CB21
	v_cmp_u_f32_e64 s[78:79], v78, v78                         // 0000000063CC: D048004E 00029D4E
	v_bfe_u32 v228, v78, 16, 1                                 // 0000000063D4: D1C800E4 0205214E
	v_add3_u32 v228, v78, v228, v231                           // 0000000063DC: D1FF00E4 079FC94E
	v_cndmask_b32_e64 v32, v228, v230, s[78:79]                // 0000000063E4: D1000020 013BCDE4
	v_lshrrev_b32_e32 v32, 16, v32                             // 0000000063EC: 20404090
	v_cmp_u_f32_e64 s[78:79], v79, v79                         // 0000000063F0: D048004E 00029F4F
	v_bfe_u32 v228, v79, 16, 1                                 // 0000000063F8: D1C800E4 0205214F
	v_add3_u32 v228, v79, v228, v231                           // 000000006400: D1FF00E4 079FC94F
	v_cndmask_b32_e64 v33, v228, v230, s[78:79]                // 000000006408: D1000021 013BCDE4
	v_and_or_b32 v77, v33, v229, v32                           // 000000006410: D201004D 0483CB21
	v_cmp_u_f32_e64 s[78:79], v80, v80                         // 000000006418: D048004E 0002A150
	v_bfe_u32 v228, v80, 16, 1                                 // 000000006420: D1C800E4 02052150
	v_add3_u32 v228, v80, v228, v231                           // 000000006428: D1FF00E4 079FC950
	v_cndmask_b32_e64 v32, v228, v230, s[78:79]                // 000000006430: D1000020 013BCDE4
	v_lshrrev_b32_e32 v32, 16, v32                             // 000000006438: 20404090
	v_cmp_u_f32_e64 s[78:79], v81, v81                         // 00000000643C: D048004E 0002A351
	v_bfe_u32 v228, v81, 16, 1                                 // 000000006444: D1C800E4 02052151
	v_add3_u32 v228, v81, v228, v231                           // 00000000644C: D1FF00E4 079FC951
	v_cndmask_b32_e64 v33, v228, v230, s[78:79]                // 000000006454: D1000021 013BCDE4
	v_and_or_b32 v78, v33, v229, v32                           // 00000000645C: D201004E 0483CB21
	v_cmp_u_f32_e64 s[78:79], v82, v82                         // 000000006464: D048004E 0002A552
	v_bfe_u32 v228, v82, 16, 1                                 // 00000000646C: D1C800E4 02052152
	v_add3_u32 v228, v82, v228, v231                           // 000000006474: D1FF00E4 079FC952
	v_cndmask_b32_e64 v32, v228, v230, s[78:79]                // 00000000647C: D1000020 013BCDE4
	v_lshrrev_b32_e32 v32, 16, v32                             // 000000006484: 20404090
	v_cmp_u_f32_e64 s[78:79], v83, v83                         // 000000006488: D048004E 0002A753
	v_bfe_u32 v228, v83, 16, 1                                 // 000000006490: D1C800E4 02052153
	v_add3_u32 v228, v83, v228, v231                           // 000000006498: D1FF00E4 079FC953
	v_cndmask_b32_e64 v33, v228, v230, s[78:79]                // 0000000064A0: D1000021 013BCDE4
	v_and_or_b32 v79, v33, v229, v32                           // 0000000064A8: D201004F 0483CB21
	v_cmp_u_f32_e64 s[78:79], v84, v84                         // 0000000064B0: D048004E 0002A954
	v_bfe_u32 v228, v84, 16, 1                                 // 0000000064B8: D1C800E4 02052154
	v_add3_u32 v228, v84, v228, v231                           // 0000000064C0: D1FF00E4 079FC954
	v_cndmask_b32_e64 v32, v228, v230, s[78:79]                // 0000000064C8: D1000020 013BCDE4
	v_lshrrev_b32_e32 v32, 16, v32                             // 0000000064D0: 20404090
	v_cmp_u_f32_e64 s[78:79], v85, v85                         // 0000000064D4: D048004E 0002AB55
	v_bfe_u32 v228, v85, 16, 1                                 // 0000000064DC: D1C800E4 02052155
	v_add3_u32 v228, v85, v228, v231                           // 0000000064E4: D1FF00E4 079FC955
	v_cndmask_b32_e64 v33, v228, v230, s[78:79]                // 0000000064EC: D1000021 013BCDE4
	v_and_or_b32 v80, v33, v229, v32                           // 0000000064F4: D2010050 0483CB21
	v_cmp_u_f32_e64 s[78:79], v86, v86                         // 0000000064FC: D048004E 0002AD56
	v_bfe_u32 v228, v86, 16, 1                                 // 000000006504: D1C800E4 02052156
	v_add3_u32 v228, v86, v228, v231                           // 00000000650C: D1FF00E4 079FC956
	v_cndmask_b32_e64 v32, v228, v230, s[78:79]                // 000000006514: D1000020 013BCDE4
	v_lshrrev_b32_e32 v32, 16, v32                             // 00000000651C: 20404090
	v_cmp_u_f32_e64 s[78:79], v87, v87                         // 000000006520: D048004E 0002AF57
	v_bfe_u32 v228, v87, 16, 1                                 // 000000006528: D1C800E4 02052157
	v_add3_u32 v228, v87, v228, v231                           // 000000006530: D1FF00E4 079FC957
	v_cndmask_b32_e64 v33, v228, v230, s[78:79]                // 000000006538: D1000021 013BCDE4
	v_and_or_b32 v81, v33, v229, v32                           // 000000006540: D2010051 0483CB21
	v_mfma_f32_16x16x16_bf16 v[200:203], v[126:127], v[166:167], v[200:203]// 000000006548: D3E100C8 07234D7E
	v_mov_b32_dpp v22, v76 quad_perm:[1,0,3,2] row_mask:0xf bank_mask:0xf// 000000006550: 7E2C02FA FF00B14C
	v_perm_b32 v52, v22, v76, v21                              // 000000006558: D1ED0034 04569916
	v_mov_b32_dpp v22, v77 quad_perm:[1,0,3,2] row_mask:0xf bank_mask:0xf// 000000006560: 7E2C02FA FF00B14D
	v_perm_b32 v53, v22, v77, v21                              // 000000006568: D1ED0035 04569B16
	v_mov_b32_dpp v22, v78 quad_perm:[1,0,3,2] row_mask:0xf bank_mask:0xf// 000000006570: 7E2C02FA FF00B14E
	v_perm_b32 v54, v22, v78, v21                              // 000000006578: D1ED0036 04569D16
	v_mfma_f32_16x16x16_bf16 v[204:207], v[128:129], v[166:167], v[204:207]// 000000006580: D3E100CC 07334D80
	v_mov_b32_dpp v22, v79 quad_perm:[1,0,3,2] row_mask:0xf bank_mask:0xf// 000000006588: 7E2C02FA FF00B14F
	v_perm_b32 v55, v22, v79, v21                              // 000000006590: D1ED0037 04569F16
	v_mov_b32_dpp v22, v80 quad_perm:[1,0,3,2] row_mask:0xf bank_mask:0xf// 000000006598: 7E2C02FA FF00B150
	v_perm_b32 v56, v22, v80, v21                              // 0000000065A0: D1ED0038 0456A116
	v_mov_b32_dpp v22, v81 quad_perm:[1,0,3,2] row_mask:0xf bank_mask:0xf// 0000000065A8: 7E2C02FA FF00B151
	v_perm_b32 v57, v22, v81, v21                              // 0000000065B0: D1ED0039 0456A316
	v_mfma_f32_16x16x16_bf16 v[208:211], v[130:131], v[166:167], v[208:211]// 0000000065B8: D3E100D0 07434D82
	ds_write_b32 v24, v52 offset:17408                         // 0000000065C0: D81A4400 00003418
	ds_write_b32 v24, v53 offset:17952                         // 0000000065C8: D81A4620 00003518
	v_mfma_f32_16x16x16_bf16 v[212:215], v[124:125], v[168:169], v[212:215]// 0000000065D0: D3E100D4 0753517C
	v_subrev_f32_dpp v88, v177, v88 quad_perm:[0,0,0,0] row_mask:0xf bank_mask:0xf// 0000000065D8: 06B0B0FA FF0000B1
	v_subrev_f32_dpp v89, v177, v89 quad_perm:[1,1,1,1] row_mask:0xf bank_mask:0xf// 0000000065E0: 06B2B2FA FF0055B1
	v_subrev_f32_dpp v90, v177, v90 quad_perm:[2,2,2,2] row_mask:0xf bank_mask:0xf// 0000000065E8: 06B4B4FA FF00AAB1
	v_subrev_f32_dpp v91, v177, v91 quad_perm:[3,3,3,3] row_mask:0xf bank_mask:0xf// 0000000065F0: 06B6B6FA FF00FFB1
	v_subrev_f32_dpp v92, v177, v92 quad_perm:[0,0,0,0] row_mask:0xf bank_mask:0xf// 0000000065F8: 06B8B8FA FF0000B1
	v_subrev_f32_dpp v93, v177, v93 quad_perm:[1,1,1,1] row_mask:0xf bank_mask:0xf// 000000006600: 06BABAFA FF0055B1
	v_mfma_f32_16x16x16_bf16 v[216:219], v[126:127], v[168:169], v[216:219]// 000000006608: D3E100D8 0763517E
	ds_write_b32 v24, v54 offset:19712                         // 000000006610: D81A4D00 00003618
	ds_write_b32 v24, v55 offset:20256                         // 000000006618: D81A4F20 00003718
	v_mfma_f32_16x16x16_bf16 v[220:223], v[128:129], v[168:169], v[220:223]// 000000006620: D3E100DC 07735180
	v_subrev_f32_dpp v94, v177, v94 quad_perm:[2,2,2,2] row_mask:0xf bank_mask:0xf// 000000006628: 06BCBCFA FF00AAB1
	v_subrev_f32_dpp v95, v177, v95 quad_perm:[3,3,3,3] row_mask:0xf bank_mask:0xf// 000000006630: 06BEBEFA FF00FFB1
	v_subrev_f32_dpp v96, v177, v96 quad_perm:[0,0,0,0] row_mask:0xf bank_mask:0xf// 000000006638: 06C0C0FA FF0000B1
	v_subrev_f32_dpp v97, v177, v97 quad_perm:[1,1,1,1] row_mask:0xf bank_mask:0xf// 000000006640: 06C2C2FA FF0055B1
	v_subrev_f32_dpp v98, v177, v98 quad_perm:[2,2,2,2] row_mask:0xf bank_mask:0xf// 000000006648: 06C4C4FA FF00AAB1
	v_subrev_f32_dpp v99, v177, v99 quad_perm:[3,3,3,3] row_mask:0xf bank_mask:0xf// 000000006650: 06C6C6FA FF00FFB1
	v_mfma_f32_16x16x16_bf16 v[224:227], v[130:131], v[168:169], v[224:227]// 000000006658: D3E100E0 07835182
	ds_write_b32 v24, v56 offset:22016                         // 000000006660: D81A5600 00003818
	ds_write_b32 v24, v57 offset:22560                         // 000000006668: D81A5820 00003918
	v_mfma_f32_16x16x16_bf16 v[180:183], v[132:133], v[170:171], v[180:183]// 000000006670: D3E100B4 06D35584
	v_mul_f32_e32 v88, v64, v88                                // 000000006678: 0AB0B140
	v_mul_f32_e32 v89, v65, v89                                // 00000000667C: 0AB2B341
	v_mul_f32_e32 v90, v66, v90                                // 000000006680: 0AB4B542
	v_mul_f32_e32 v91, v67, v91                                // 000000006684: 0AB6B743
	v_mul_f32_e32 v92, v68, v92                                // 000000006688: 0AB8B944
	v_mul_f32_e32 v93, v69, v93                                // 00000000668C: 0ABABB45
	v_mfma_f32_16x16x16_bf16 v[184:187], v[134:135], v[170:171], v[184:187]// 000000006690: D3E100B8 06E35586
	v_mul_f32_e32 v94, v70, v94                                // 000000006698: 0ABCBD46
	v_mul_f32_e32 v95, v71, v95                                // 00000000669C: 0ABEBF47
	v_mul_f32_e32 v96, v72, v96                                // 0000000066A0: 0AC0C148
	v_mul_f32_e32 v97, v73, v97                                // 0000000066A4: 0AC2C349
	v_mul_f32_e32 v98, v74, v98                                // 0000000066A8: 0AC4C54A
	v_mul_f32_e32 v99, v75, v99                                // 0000000066AC: 0AC6C74B
	v_mfma_f32_16x16x16_bf16 v[188:191], v[136:137], v[170:171], v[188:191]// 0000000066B0: D3E100BC 06F35588
	v_cmp_u_f32_e64 s[78:79], v88, v88                         // 0000000066B8: D048004E 0002B158
	v_bfe_u32 v228, v88, 16, 1                                 // 0000000066C0: D1C800E4 02052158
	v_add3_u32 v228, v88, v228, v231                           // 0000000066C8: D1FF00E4 079FC958
	v_cndmask_b32_e64 v32, v228, v230, s[78:79]                // 0000000066D0: D1000020 013BCDE4
	v_lshrrev_b32_e32 v32, 16, v32                             // 0000000066D8: 20404090
	v_cmp_u_f32_e64 s[78:79], v89, v89                         // 0000000066DC: D048004E 0002B359
	v_bfe_u32 v228, v89, 16, 1                                 // 0000000066E4: D1C800E4 02052159
	v_add3_u32 v228, v89, v228, v231                           // 0000000066EC: D1FF00E4 079FC959
	v_cndmask_b32_e64 v33, v228, v230, s[78:79]                // 0000000066F4: D1000021 013BCDE4
	v_and_or_b32 v82, v33, v229, v32                           // 0000000066FC: D2010052 0483CB21
	v_cmp_u_f32_e64 s[78:79], v90, v90                         // 000000006704: D048004E 0002B55A
	v_bfe_u32 v228, v90, 16, 1                                 // 00000000670C: D1C800E4 0205215A
	v_add3_u32 v228, v90, v228, v231                           // 000000006714: D1FF00E4 079FC95A
	v_cndmask_b32_e64 v32, v228, v230, s[78:79]                // 00000000671C: D1000020 013BCDE4
	v_lshrrev_b32_e32 v32, 16, v32                             // 000000006724: 20404090
	v_cmp_u_f32_e64 s[78:79], v91, v91                         // 000000006728: D048004E 0002B75B
	v_bfe_u32 v228, v91, 16, 1                                 // 000000006730: D1C800E4 0205215B
	v_add3_u32 v228, v91, v228, v231                           // 000000006738: D1FF00E4 079FC95B
	v_cndmask_b32_e64 v33, v228, v230, s[78:79]                // 000000006740: D1000021 013BCDE4
	v_and_or_b32 v83, v33, v229, v32                           // 000000006748: D2010053 0483CB21
	v_cmp_u_f32_e64 s[78:79], v92, v92                         // 000000006750: D048004E 0002B95C
	v_bfe_u32 v228, v92, 16, 1                                 // 000000006758: D1C800E4 0205215C
	v_add3_u32 v228, v92, v228, v231                           // 000000006760: D1FF00E4 079FC95C
	v_cndmask_b32_e64 v32, v228, v230, s[78:79]                // 000000006768: D1000020 013BCDE4
	v_lshrrev_b32_e32 v32, 16, v32                             // 000000006770: 20404090
	v_cmp_u_f32_e64 s[78:79], v93, v93                         // 000000006774: D048004E 0002BB5D
	v_bfe_u32 v228, v93, 16, 1                                 // 00000000677C: D1C800E4 0205215D
	v_add3_u32 v228, v93, v228, v231                           // 000000006784: D1FF00E4 079FC95D
	v_cndmask_b32_e64 v33, v228, v230, s[78:79]                // 00000000678C: D1000021 013BCDE4
	v_and_or_b32 v84, v33, v229, v32                           // 000000006794: D2010054 0483CB21
	v_cmp_u_f32_e64 s[78:79], v94, v94                         // 00000000679C: D048004E 0002BD5E
	v_bfe_u32 v228, v94, 16, 1                                 // 0000000067A4: D1C800E4 0205215E
	v_add3_u32 v228, v94, v228, v231                           // 0000000067AC: D1FF00E4 079FC95E
	v_cndmask_b32_e64 v32, v228, v230, s[78:79]                // 0000000067B4: D1000020 013BCDE4
	v_lshrrev_b32_e32 v32, 16, v32                             // 0000000067BC: 20404090
	v_cmp_u_f32_e64 s[78:79], v95, v95                         // 0000000067C0: D048004E 0002BF5F
	v_bfe_u32 v228, v95, 16, 1                                 // 0000000067C8: D1C800E4 0205215F
	v_add3_u32 v228, v95, v228, v231                           // 0000000067D0: D1FF00E4 079FC95F
	v_cndmask_b32_e64 v33, v228, v230, s[78:79]                // 0000000067D8: D1000021 013BCDE4
	v_and_or_b32 v85, v33, v229, v32                           // 0000000067E0: D2010055 0483CB21
	v_cmp_u_f32_e64 s[78:79], v96, v96                         // 0000000067E8: D048004E 0002C160
	v_bfe_u32 v228, v96, 16, 1                                 // 0000000067F0: D1C800E4 02052160
	v_add3_u32 v228, v96, v228, v231                           // 0000000067F8: D1FF00E4 079FC960
	v_cndmask_b32_e64 v32, v228, v230, s[78:79]                // 000000006800: D1000020 013BCDE4
	v_lshrrev_b32_e32 v32, 16, v32                             // 000000006808: 20404090
	v_cmp_u_f32_e64 s[78:79], v97, v97                         // 00000000680C: D048004E 0002C361
	v_bfe_u32 v228, v97, 16, 1                                 // 000000006814: D1C800E4 02052161
	v_add3_u32 v228, v97, v228, v231                           // 00000000681C: D1FF00E4 079FC961
	v_cndmask_b32_e64 v33, v228, v230, s[78:79]                // 000000006824: D1000021 013BCDE4
	v_and_or_b32 v86, v33, v229, v32                           // 00000000682C: D2010056 0483CB21
	v_cmp_u_f32_e64 s[78:79], v98, v98                         // 000000006834: D048004E 0002C562
	v_bfe_u32 v228, v98, 16, 1                                 // 00000000683C: D1C800E4 02052162
	v_add3_u32 v228, v98, v228, v231                           // 000000006844: D1FF00E4 079FC962
	v_cndmask_b32_e64 v32, v228, v230, s[78:79]                // 00000000684C: D1000020 013BCDE4
	v_lshrrev_b32_e32 v32, 16, v32                             // 000000006854: 20404090
	v_cmp_u_f32_e64 s[78:79], v99, v99                         // 000000006858: D048004E 0002C763
	v_bfe_u32 v228, v99, 16, 1                                 // 000000006860: D1C800E4 02052163
	v_add3_u32 v228, v99, v228, v231                           // 000000006868: D1FF00E4 079FC963
	v_cndmask_b32_e64 v33, v228, v230, s[78:79]                // 000000006870: D1000021 013BCDE4
	v_and_or_b32 v87, v33, v229, v32                           // 000000006878: D2010057 0483CB21
	v_mfma_f32_16x16x16_bf16 v[192:195], v[138:139], v[170:171], v[192:195]// 000000006880: D3E100C0 0703558A
	v_mov_b32_dpp v22, v82 quad_perm:[1,0,3,2] row_mask:0xf bank_mask:0xf// 000000006888: 7E2C02FA FF00B152
	v_perm_b32 v58, v22, v82, v21                              // 000000006890: D1ED003A 0456A516
	v_mov_b32_dpp v22, v83 quad_perm:[1,0,3,2] row_mask:0xf bank_mask:0xf// 000000006898: 7E2C02FA FF00B153
	v_perm_b32 v59, v22, v83, v21                              // 0000000068A0: D1ED003B 0456A716
	v_mov_b32_dpp v22, v84 quad_perm:[1,0,3,2] row_mask:0xf bank_mask:0xf// 0000000068A8: 7E2C02FA FF00B154
	v_perm_b32 v60, v22, v84, v21                              // 0000000068B0: D1ED003C 0456A916
	v_mfma_f32_16x16x16_bf16 v[196:199], v[132:133], v[172:173], v[196:199]// 0000000068B8: D3E100C4 07135984
	v_mov_b32_dpp v22, v85 quad_perm:[1,0,3,2] row_mask:0xf bank_mask:0xf// 0000000068C0: 7E2C02FA FF00B155
	v_perm_b32 v61, v22, v85, v21                              // 0000000068C8: D1ED003D 0456AB16
	v_mov_b32_dpp v22, v86 quad_perm:[1,0,3,2] row_mask:0xf bank_mask:0xf// 0000000068D0: 7E2C02FA FF00B156
	v_perm_b32 v62, v22, v86, v21                              // 0000000068D8: D1ED003E 0456AD16
	v_mov_b32_dpp v22, v87 quad_perm:[1,0,3,2] row_mask:0xf bank_mask:0xf// 0000000068E0: 7E2C02FA FF00B157
	v_perm_b32 v63, v22, v87, v21                              // 0000000068E8: D1ED003F 0456AF16
	v_mfma_f32_16x16x16_bf16 v[200:203], v[134:135], v[172:173], v[200:203]// 0000000068F0: D3E100C8 07235986
	ds_write_b32 v24, v58 offset:24320                         // 0000000068F8: D81A5F00 00003A18
	ds_write_b32 v24, v59 offset:24864                         // 000000006900: D81A6120 00003B18
	v_mfma_f32_16x16x16_bf16 v[204:207], v[136:137], v[172:173], v[204:207]// 000000006908: D3E100CC 07335988
	v_mfma_f32_16x16x16_bf16 v[208:211], v[138:139], v[172:173], v[208:211]// 000000006910: D3E100D0 0743598A
	ds_write_b32 v24, v60 offset:26624                         // 000000006918: D81A6800 00003C18
	ds_write_b32 v24, v61 offset:27168                         // 000000006920: D81A6A20 00003D18
	ds_write_b32 v24, v62 offset:28928                         // 000000006928: D81A7100 00003E18
	ds_write_b32 v24, v63 offset:29472                         // 000000006930: D81A7320 00003F18
	v_mfma_f32_16x16x16_bf16 v[212:215], v[132:133], v[174:175], v[212:215]// 000000006938: D3E100D4 07535D84
	v_mfma_f32_16x16x16_bf16 v[216:219], v[134:135], v[174:175], v[216:219]// 000000006940: D3E100D8 07635D86
	ds_write_b32 v19, v100 offset:4352                         // 000000006948: D81A1100 00006413
	ds_write_b32 v19, v101 offset:5408                         // 000000006950: D81A1520 00006513
	v_mfma_f32_16x16x16_bf16 v[220:223], v[136:137], v[174:175], v[220:223]// 000000006958: D3E100DC 07735D88
	s_nop 0                                                    // 000000006960: BF800000
	s_nop 0                                                    // 000000006964: BF800000
	;; [unrolled: 1-line block ×3, first 2 shown]
	v_mfma_f32_16x16x16_bf16 v[224:227], v[138:139], v[174:175], v[224:227]// 00000000696C: D3E100E0 07835D8A
	ds_write_b32 v19, v102 offset:6528                         // 000000006974: D81A1980 00006613
	ds_write_b32 v19, v103 offset:7584                         // 00000000697C: D81A1DA0 00006713
	s_barrier                                                  // 000000006984: BF8A0000
	v_mfma_f32_16x16x16_bf16 a[112:115], a[96:97], v[76:77], a[112:115]// 000000006988: D3E18070 0DC29960
	global_atomic_pk_add_bf16 v6, v156, s[32:33]               // 000000006990: DD488000 00209C06
	v_mfma_f32_16x16x16_bf16 a[116:119], a[98:99], v[76:77], a[116:119]// 000000006998: D3E18074 0DD29962
	ds_read_b32 v140, v27 offset:36096                         // 0000000069A0: D86C8D00 8C00001B
	ds_read_b32 v144, v27 offset:36160                         // 0000000069A8: D86C8D40 9000001B
	ds_read_b32 v176, v27 offset:36352                         // 0000000069B0: D86C8E00 B000001B
	ds_read_b32 v177, v27 offset:36416                         // 0000000069B8: D86C8E40 B100001B
	v_mfma_f32_16x16x16_bf16 a[120:123], a[100:101], v[76:77], a[120:123]// 0000000069C0: D3E18078 0DE29964
	s_waitcnt lgkmcnt(8)                                       // 0000000069C8: BF8CC87F
	s_barrier                                                  // 0000000069CC: BF8A0000
	v_mfma_f32_16x16x16_bf16 a[124:127], a[102:103], v[76:77], a[124:127]// 0000000069D0: D3E1807C 0DF29966
	ds_read_b128 v[52:55], v23 offset:17408                    // 0000000069D8: D9FE4400 34000017
	v_mfma_f32_16x16x16_bf16 a[128:131], a[96:97], v[78:79], a[128:131]// 0000000069E0: D3E18080 0E029D60
	v_mfma_f32_16x16x16_bf16 a[132:135], a[98:99], v[78:79], a[132:135]// 0000000069E8: D3E18084 0E129D62
	ds_read_b128 v[56:59], v23 offset:18560                    // 0000000069F0: D9FE4880 38000017
	v_mfma_f32_16x16x16_bf16 a[136:139], a[100:101], v[78:79], a[136:139]// 0000000069F8: D3E18088 0E229D64
	global_atomic_pk_add_bf16 v8, v157, s[32:33]               // 000000006A00: DD488000 00209D08
	v_mfma_f32_16x16x16_bf16 a[140:143], a[102:103], v[78:79], a[140:143]// 000000006A08: D3E1808C 0E329D66
	ds_read_b128 v[60:63], v23 offset:19712                    // 000000006A10: D9FE4D00 3C000017
	v_mfma_f32_16x16x16_bf16 a[144:147], a[96:97], v[80:81], a[144:147]// 000000006A18: D3E18090 0E42A160
	v_mfma_f32_16x16x16_bf16 a[148:151], a[98:99], v[80:81], a[148:151]// 000000006A20: D3E18094 0E52A162
	ds_read_b128 v[64:67], v23 offset:20864                    // 000000006A28: D9FE5180 40000017
	v_mfma_f32_16x16x16_bf16 a[152:155], a[100:101], v[80:81], a[152:155]// 000000006A30: D3E18098 0E62A164
	v_mfma_f32_16x16x16_bf16 a[156:159], a[102:103], v[80:81], a[156:159]// 000000006A38: D3E1809C 0E72A166
	ds_read_b128 v[68:71], v23 offset:22016                    // 000000006A40: D9FE5600 44000017
	v_mfma_f32_16x16x16_bf16 a[112:115], a[104:105], v[82:83], a[112:115]// 000000006A48: D3E18070 0DC2A568
	global_atomic_pk_add_bf16 v10, v158, s[32:33]              // 000000006A50: DD488000 00209E0A
	v_mfma_f32_16x16x16_bf16 a[116:119], a[106:107], v[82:83], a[116:119]// 000000006A58: D3E18074 0DD2A56A
	ds_read_b128 v[72:75], v23 offset:23168                    // 000000006A60: D9FE5A80 48000017
	v_mfma_f32_16x16x16_bf16 a[120:123], a[108:109], v[82:83], a[120:123]// 000000006A68: D3E18078 0DE2A56C
	v_mfma_f32_16x16x16_bf16 a[124:127], a[110:111], v[82:83], a[124:127]// 000000006A70: D3E1807C 0DF2A56E
	ds_write_b32 v19, v104 offset:13056                        // 000000006A78: D81A3300 00006813
	v_mfma_f32_16x16x16_bf16 a[128:131], a[104:105], v[84:85], a[128:131]// 000000006A80: D3E18080 0E02A968
	v_mfma_f32_16x16x16_bf16 a[132:135], a[106:107], v[84:85], a[132:135]// 000000006A88: D3E18084 0E12A96A
	ds_write_b32 v19, v105 offset:14112                        // 000000006A90: D81A3720 00006913
	v_mfma_f32_16x16x16_bf16 a[136:139], a[108:109], v[84:85], a[136:139]// 000000006A98: D3E18088 0E22A96C
	global_atomic_pk_add_bf16 v12, v159, s[32:33]              // 000000006AA0: DD488000 00209F0C
	v_mfma_f32_16x16x16_bf16 a[140:143], a[110:111], v[84:85], a[140:143]// 000000006AA8: D3E1808C 0E32A96E
	ds_write_b32 v19, v106 offset:15232                        // 000000006AB0: D81A3B80 00006A13
	v_mfma_f32_16x16x16_bf16 a[144:147], a[104:105], v[86:87], a[144:147]// 000000006AB8: D3E18090 0E42AD68
	v_mfma_f32_16x16x16_bf16 a[148:151], a[106:107], v[86:87], a[148:151]// 000000006AC0: D3E18094 0E52AD6A
	ds_write_b32 v19, v107 offset:16288                        // 000000006AC8: D81A3FA0 00006B13
	v_mfma_f32_16x16x16_bf16 a[152:155], a[108:109], v[86:87], a[152:155]// 000000006AD0: D3E18098 0E62AD6C
	v_mfma_f32_16x16x16_bf16 a[156:159], a[110:111], v[86:87], a[156:159]// 000000006AD8: D3E1809C 0E72AD6E
	s_waitcnt vmcnt(4) lgkmcnt(4)                              // 000000006AE0: BF8C0474
	s_barrier                                                  // 000000006AE4: BF8A0000
	v_mfma_f32_16x16x16_bf16 v[148:151], a[24:25], v[52:53], 0 // 000000006AE8: D3E10094 0A026918
	v_mul_f32_e32 v140, s49, v140                              // 000000006AF0: 0B191831
	v_mul_f32_e32 v144, s49, v144                              // 000000006AF4: 0B212031
	s_nop 0                                                    // 000000006AF8: BF800000
	v_mfma_f32_16x16x16_bf16 v[148:151], a[28:29], v[54:55], v[148:151]// 000000006AFC: D3E10094 0E526D1C
	ds_read_b128 a[96:99], v16                                 // 000000006B04: DBFE0000 60000010
	buffer_load_dword v40, v1, s[8:11], 0 idxen                // 000000006B0C: E0502000 80022801
	v_mfma_f32_16x16x16_bf16 v[148:151], a[32:33], v[56:57], v[148:151]// 000000006B14: D3E10094 0E527120
	v_mfma_f32_16x16x16_bf16 v[148:151], a[36:37], v[58:59], v[148:151]// 000000006B1C: D3E10094 0E527524
	ds_read_b128 a[100:103], v16 offset:512                    // 000000006B24: DBFE0200 64000010
	buffer_load_dword v41, v2, s[8:11], 0 idxen                // 000000006B2C: E0502000 80022902
	v_mfma_f32_16x16x16_bf16 v[148:151], a[40:41], v[60:61], v[148:151]// 000000006B34: D3E10094 0E527928
	v_perm_b32 v100, v37, v36, s63                             // 000000006B3C: D1ED0064 00FE4925
	v_perm_b32 v101, v37, v36, s64                             // 000000006B44: D1ED0065 01024925
	v_mfma_f32_16x16x16_bf16 v[148:151], a[44:45], v[62:63], v[148:151]// 000000006B4C: D3E10094 0E527D2C
	ds_read_b128 a[104:107], v16 offset:2176                   // 000000006B54: DBFE0880 68000010
	buffer_load_dword v42, v3, s[8:11], 0 idxen                // 000000006B5C: E0502000 80022A03
	v_mfma_f32_16x16x16_bf16 v[148:151], a[48:49], v[64:65], v[148:151]// 000000006B64: D3E10094 0E528130
	v_perm_b32 v102, v39, v38, s63                             // 000000006B6C: D1ED0066 00FE4D27
	v_perm_b32 v103, v39, v38, s64                             // 000000006B74: D1ED0067 01024D27
	v_mfma_f32_16x16x16_bf16 v[148:151], a[52:53], v[66:67], v[148:151]// 000000006B7C: D3E10094 0E528534
	ds_read_b128 a[108:111], v16 offset:2688                   // 000000006B84: DBFE0A80 6C000010
	buffer_load_dword v43, v4, s[8:11], 0 idxen                // 000000006B8C: E0502000 80022B04
	v_mfma_f32_16x16x16_bf16 v[148:151], a[56:57], v[68:69], v[148:151]// 000000006B94: D3E10094 0E528938
	v_perm_b32 v104, v45, v44, s63                             // 000000006B9C: D1ED0068 00FE592D
	v_perm_b32 v105, v45, v44, s64                             // 000000006BA4: D1ED0069 0102592D
	v_mfma_f32_16x16x16_bf16 v[148:151], a[60:61], v[70:71], v[148:151]// 000000006BAC: D3E10094 0E528D3C
	ds_read_b128 v[108:111], v16 offset:8704                   // 000000006BB4: D9FE2200 6C000010
	buffer_load_dword v48, v1, s[20:23], 0 idxen               // 000000006BBC: E0502000 80053001
	v_mfma_f32_16x16x16_bf16 v[148:151], a[64:65], v[72:73], v[148:151]// 000000006BC4: D3E10094 0E529140
	v_perm_b32 v106, v47, v46, s63                             // 000000006BCC: D1ED006A 00FE5D2F
	v_perm_b32 v107, v47, v46, s64                             // 000000006BD4: D1ED006B 01025D2F
	v_mfma_f32_16x16x16_bf16 v[148:151], a[68:69], v[74:75], v[148:151]// 000000006BDC: D3E10094 0E529544
	ds_read_b128 v[112:115], v16 offset:9216                   // 000000006BE4: D9FE2400 70000010
	buffer_load_dword v49, v2, s[20:23], 0 idxen               // 000000006BEC: E0502000 80053102
	v_mfma_f32_16x16x16_bf16 v[152:155], a[26:27], v[52:53], 0 // 000000006BF4: D3E10098 0A02691A
	v_mov_b32_dpp v143, v140 quad_perm:[3,3,3,3] row_mask:0xf bank_mask:0xf// 000000006BFC: 7F1E02FA FF00FF8C
	v_mov_b32_dpp v142, v140 quad_perm:[2,2,2,2] row_mask:0xf bank_mask:0xf// 000000006C04: 7F1C02FA FF00AA8C
	v_mov_b32_dpp v141, v140 quad_perm:[1,1,1,1] row_mask:0xf bank_mask:0xf// 000000006C0C: 7F1A02FA FF00558C
	v_mov_b32_dpp v140, v140 quad_perm:[0,0,0,0] row_mask:0xf bank_mask:0xf// 000000006C14: 7F1802FA FF00008C
	v_mfma_f32_16x16x16_bf16 v[152:155], a[30:31], v[54:55], v[152:155]// 000000006C1C: D3E10098 0E626D1E
	ds_read_b128 v[116:119], v16 offset:10880                  // 000000006C24: D9FE2A80 74000010
	buffer_load_dword v50, v3, s[20:23], 0 idxen               // 000000006C2C: E0502000 80053203
	v_mfma_f32_16x16x16_bf16 v[152:155], a[34:35], v[56:57], v[152:155]// 000000006C34: D3E10098 0E627122
	v_mov_b32_dpp v147, v144 quad_perm:[3,3,3,3] row_mask:0xf bank_mask:0xf// 000000006C3C: 7F2602FA FF00FF90
	v_mov_b32_dpp v146, v144 quad_perm:[2,2,2,2] row_mask:0xf bank_mask:0xf// 000000006C44: 7F2402FA FF00AA90
	v_mov_b32_dpp v145, v144 quad_perm:[1,1,1,1] row_mask:0xf bank_mask:0xf// 000000006C4C: 7F2202FA FF005590
	v_mov_b32_dpp v144, v144 quad_perm:[0,0,0,0] row_mask:0xf bank_mask:0xf// 000000006C54: 7F2002FA FF000090
	s_add_u32 s60, 0x80, s59                                   // 000000006C5C: 803C3BFF 00000080
	v_mfma_f32_16x16x16_bf16 v[152:155], a[38:39], v[58:59], v[152:155]// 000000006C64: D3E10098 0E627526
	ds_read_b128 v[120:123], v16 offset:11392                  // 000000006C6C: D9FE2C80 78000010
	buffer_load_dword v51, v4, s[20:23], 0 idxen               // 000000006C74: E0502000 80053304
	v_mfma_f32_16x16x16_bf16 v[152:155], a[42:43], v[60:61], v[152:155]// 000000006C7C: D3E10098 0E62792A
	s_cmp_lt_u32 s60, s58                                      // 000000006C84: BF0A3A3C
	s_cselect_b32 s68, s68, 0                                  // 000000006C88: 85448044
	s_cselect_b32 s69, s69, 0                                  // 000000006C8C: 85458045
	v_mfma_f32_16x16x16_bf16 v[152:155], a[46:47], v[62:63], v[152:155]// 000000006C90: D3E10098 0E627D2E
	buffer_load_dword v15, s[24:27], 0 idxen lds               // 000000006C98: E0512000 8006000F
	v_mfma_f32_16x16x16_bf16 v[152:155], a[50:51], v[64:65], v[152:155]// 000000006CA0: D3E10098 0E628132
	s_add_u32 s8, s68, s8                                      // 000000006CA8: 80080844
	s_addc_u32 s9, 0, s9                                       // 000000006CAC: 82090980
	v_mfma_f32_16x16x16_bf16 v[152:155], a[54:55], v[66:67], v[152:155]// 000000006CB0: D3E10098 0E628536
	s_add_u32 s20, s68, s20                                    // 000000006CB8: 80141444
	s_addc_u32 s21, 0, s21                                     // 000000006CBC: 82151580
	v_mfma_f32_16x16x16_bf16 v[152:155], a[58:59], v[68:69], v[152:155]// 000000006CC0: D3E10098 0E62893A
	s_mov_b32 m0, s80                                          // 000000006CC8: BEFC0050
	v_add_u32_e32 v15, s69, v15                                // 000000006CCC: 681E1E45
	v_mfma_f32_16x16x16_bf16 v[152:155], a[62:63], v[70:71], v[152:155]// 000000006CD0: D3E10098 0E628D3E
	s_cmp_ge_u32 s59, s73                                      // 000000006CD8: BF09493B
	s_cselect_b32 s66, s67, s66                                // 000000006CDC: 85424243
	v_mfma_f32_16x16x16_bf16 v[152:155], a[66:67], v[72:73], v[152:155]// 000000006CE0: D3E10098 0E629142
	s_addk_i32 s59, 0x20                                       // 000000006CE8: B73B0020
	s_nop 0                                                    // 000000006CEC: BF800000
	s_cmp_lt_i32 s59, s58                                      // 000000006CF0: BF043A3B
	v_mfma_f32_16x16x16_bf16 v[152:155], a[70:71], v[74:75], v[152:155]// 000000006CF4: D3E10098 0E629546
	s_cbranch_scc0 label_10CC                                  // 000000006CFC: BF84058C
	s_waitcnt lgkmcnt(4)                                       // 000000006D00: BF8CC47F
	s_barrier                                                  // 000000006D04: BF8A0000
	v_mfma_f32_16x16x16_bf16 v[52:55], a[96:97], a[0:1], 0     // 000000006D08: D3E10034 1A020160
	ds_write_b32 v17, v44 offset:8704                          // 000000006D10: D81A2200 00002C11
	ds_write_b32 v17, v45 offset:9760                          // 000000006D18: D81A2620 00002D11
	v_mfma_f32_16x16x16_bf16 v[52:55], a[98:99], a[2:3], v[52:55]// 000000006D20: D3E10034 1CD20562
	v_mul_f32_e32 v148, s48, v148                              // 000000006D28: 0B292830
	v_mul_f32_e32 v149, s48, v149                              // 000000006D2C: 0B2B2A30
	v_mfma_f32_16x16x16_bf16 v[52:55], a[100:101], a[4:5], v[52:55]// 000000006D30: D3E10034 1CD20964
	ds_write_b32 v17, v46 offset:10880                         // 000000006D38: D81A2A80 00002E11
	ds_write_b32 v17, v47 offset:11936                         // 000000006D40: D81A2EA0 00002F11
	v_mfma_f32_16x16x16_bf16 v[52:55], a[102:103], a[6:7], v[52:55]// 000000006D48: D3E10034 1CD20D66
	v_mul_f32_e32 v150, s48, v150                              // 000000006D50: 0B2D2C30
	v_mul_f32_e32 v151, s48, v151                              // 000000006D54: 0B2F2E30
	v_mfma_f32_16x16x16_bf16 v[56:59], a[96:97], a[8:9], 0     // 000000006D58: D3E10038 1A021160
	v_mul_f32_e32 v152, s48, v152                              // 000000006D60: 0B313030
	v_mul_f32_e32 v153, s48, v153                              // 000000006D64: 0B333230
	v_mfma_f32_16x16x16_bf16 v[56:59], a[98:99], a[10:11], v[56:59]// 000000006D68: D3E10038 1CE21562
	v_mul_f32_e32 v154, s48, v154                              // 000000006D70: 0B353430
	v_mul_f32_e32 v155, s48, v155                              // 000000006D74: 0B373630
	v_mfma_f32_16x16x16_bf16 v[56:59], a[100:101], a[12:13], v[56:59]// 000000006D78: D3E10038 1CE21964
	v_cmp_u_f32_e64 s[78:79], v148, v148                       // 000000006D80: D048004E 00032994
	v_bfe_u32 v228, v148, 16, 1                                // 000000006D88: D1C800E4 02052194
	v_add3_u32 v228, v148, v228, v231                          // 000000006D90: D1FF00E4 079FC994
	v_cndmask_b32_e64 v32, v228, v230, s[78:79]                // 000000006D98: D1000020 013BCDE4
	v_lshrrev_b32_e32 v32, 16, v32                             // 000000006DA0: 20404090
	v_cmp_u_f32_e64 s[78:79], v149, v149                       // 000000006DA4: D048004E 00032B95
	v_bfe_u32 v228, v149, 16, 1                                // 000000006DAC: D1C800E4 02052195
	v_add3_u32 v228, v149, v228, v231                          // 000000006DB4: D1FF00E4 079FC995
	v_cndmask_b32_e64 v33, v228, v230, s[78:79]                // 000000006DBC: D1000021 013BCDE4
	v_and_or_b32 v148, v33, v229, v32                          // 000000006DC4: D2010094 0483CB21
	v_cmp_u_f32_e64 s[78:79], v150, v150                       // 000000006DCC: D048004E 00032D96
	v_bfe_u32 v228, v150, 16, 1                                // 000000006DD4: D1C800E4 02052196
	v_add3_u32 v228, v150, v228, v231                          // 000000006DDC: D1FF00E4 079FC996
	v_cndmask_b32_e64 v32, v228, v230, s[78:79]                // 000000006DE4: D1000020 013BCDE4
	v_lshrrev_b32_e32 v32, 16, v32                             // 000000006DEC: 20404090
	v_cmp_u_f32_e64 s[78:79], v151, v151                       // 000000006DF0: D048004E 00032F97
	v_bfe_u32 v228, v151, 16, 1                                // 000000006DF8: D1C800E4 02052197
	v_add3_u32 v228, v151, v228, v231                          // 000000006E00: D1FF00E4 079FC997
	v_cndmask_b32_e64 v33, v228, v230, s[78:79]                // 000000006E08: D1000021 013BCDE4
	v_and_or_b32 v149, v33, v229, v32                          // 000000006E10: D2010095 0483CB21
	v_mfma_f32_16x16x16_bf16 v[56:59], a[102:103], a[14:15], v[56:59]// 000000006E18: D3E10038 1CE21D66
	v_cmp_u_f32_e64 s[78:79], v152, v152                       // 000000006E20: D048004E 00033198
	v_bfe_u32 v228, v152, 16, 1                                // 000000006E28: D1C800E4 02052198
	v_add3_u32 v228, v152, v228, v231                          // 000000006E30: D1FF00E4 079FC998
	v_cndmask_b32_e64 v32, v228, v230, s[78:79]                // 000000006E38: D1000020 013BCDE4
	v_lshrrev_b32_e32 v32, 16, v32                             // 000000006E40: 20404090
	v_cmp_u_f32_e64 s[78:79], v153, v153                       // 000000006E44: D048004E 00033399
	v_bfe_u32 v228, v153, 16, 1                                // 000000006E4C: D1C800E4 02052199
	v_add3_u32 v228, v153, v228, v231                          // 000000006E54: D1FF00E4 079FC999
	v_cndmask_b32_e64 v33, v228, v230, s[78:79]                // 000000006E5C: D1000021 013BCDE4
	v_and_or_b32 v150, v33, v229, v32                          // 000000006E64: D2010096 0483CB21
	v_cmp_u_f32_e64 s[78:79], v154, v154                       // 000000006E6C: D048004E 0003359A
	v_bfe_u32 v228, v154, 16, 1                                // 000000006E74: D1C800E4 0205219A
	v_add3_u32 v228, v154, v228, v231                          // 000000006E7C: D1FF00E4 079FC99A
	v_cndmask_b32_e64 v32, v228, v230, s[78:79]                // 000000006E84: D1000020 013BCDE4
	v_lshrrev_b32_e32 v32, 16, v32                             // 000000006E8C: 20404090
	v_cmp_u_f32_e64 s[78:79], v155, v155                       // 000000006E90: D048004E 0003379B
	v_bfe_u32 v228, v155, 16, 1                                // 000000006E98: D1C800E4 0205219B
	v_add3_u32 v228, v155, v228, v231                          // 000000006EA0: D1FF00E4 079FC99B
	v_cndmask_b32_e64 v33, v228, v230, s[78:79]                // 000000006EA8: D1000021 013BCDE4
	v_and_or_b32 v151, v33, v229, v32                          // 000000006EB0: D2010097 0483CB21
	v_mfma_f32_16x16x16_bf16 v[60:63], a[96:97], a[16:17], 0   // 000000006EB8: D3E1003C 1A022160
	ds_write_b64 v26, v[148:149] offset:31232                  // 000000006EC0: D89A7A00 0000941A
	v_mfma_f32_16x16x16_bf16 v[60:63], a[98:99], a[18:19], v[60:63]// 000000006EC8: D3E1003C 1CF22562
	v_mfma_f32_16x16x16_bf16 v[60:63], a[100:101], a[20:21], v[60:63]// 000000006ED0: D3E1003C 1CF22964
	ds_write_b64 v26, v[150:151] offset:31776                  // 000000006ED8: D89A7C20 0000961A
	v_mfma_f32_16x16x16_bf16 v[60:63], a[102:103], a[22:23], v[60:63]// 000000006EE0: D3E1003C 1CF22D66
	v_mfma_f32_16x16x16_bf16 v[64:67], a[104:105], a[0:1], 0   // 000000006EE8: D3E10040 1A020168
	ds_read_b128 v[124:127], v18 offset:13056                  // 000000006EF0: D9FE3300 7C000012
	ds_write_b32 v17, v36                                      // 000000006EF8: D81A0000 00002411
	v_mfma_f32_16x16x16_bf16 v[64:67], a[106:107], a[2:3], v[64:67]// 000000006F00: D3E10040 1D02056A
	v_mfma_f32_16x16x16_bf16 v[64:67], a[108:109], a[4:5], v[64:67]// 000000006F08: D3E10040 1D02096C
	v_mfma_f32_16x16x16_bf16 v[64:67], a[110:111], a[6:7], v[64:67]// 000000006F10: D3E10040 1D020D6E
	ds_read_b128 v[128:131], v18 offset:13568                  // 000000006F18: D9FE3500 80000012
	ds_write_b32 v17, v37 offset:1056                          // 000000006F20: D81A0420 00002511
	v_mfma_f32_16x16x16_bf16 v[68:71], a[104:105], a[8:9], 0   // 000000006F28: D3E10044 1A021168
	v_mfma_f32_16x16x16_bf16 v[68:71], a[106:107], a[10:11], v[68:71]// 000000006F30: D3E10044 1D12156A
	v_mfma_f32_16x16x16_bf16 v[68:71], a[108:109], a[12:13], v[68:71]// 000000006F38: D3E10044 1D12196C
	ds_read_b128 v[132:135], v18 offset:15232                  // 000000006F40: D9FE3B80 84000012
	ds_write_b32 v17, v38 offset:2176                          // 000000006F48: D81A0880 00002611
	v_mfma_f32_16x16x16_bf16 v[68:71], a[110:111], a[14:15], v[68:71]// 000000006F50: D3E10044 1D121D6E
	v_mfma_f32_16x16x16_bf16 v[72:75], a[104:105], a[16:17], 0 // 000000006F58: D3E10048 1A022168
	v_mfma_f32_16x16x16_bf16 v[72:75], a[106:107], a[18:19], v[72:75]// 000000006F60: D3E10048 1D22256A
	ds_read_b128 v[136:139], v18 offset:15744                  // 000000006F68: D9FE3D80 88000012
	ds_write_b32 v17, v39 offset:3232                          // 000000006F70: D81A0CA0 00002711
	v_mfma_f32_16x16x16_bf16 v[72:75], a[108:109], a[20:21], v[72:75]// 000000006F78: D3E10048 1D22296C
	v_mfma_f32_16x16x16_bf16 v[72:75], a[110:111], a[22:23], v[72:75]// 000000006F80: D3E10048 1D222D6E
	s_cmp_lt_i32 s74, 12                                       // 000000006F88: BF048C4A
	s_cbranch_scc0 label_0CCA                                  // 000000006F8C: BF8400E6
	s_mov_b32 s60, 0xffe0fffe                                  // 000000006F90: BEBC00FF FFE0FFFE
	s_mov_b32 s61, 0xe000fe00                                  // 000000006F98: BEBD00FF E000FE00
	s_nop 0                                                    // 000000006FA0: BF800000
	s_add_u32 s62, 0, s47                                      // 000000006FA4: 803E2F80
	s_cmp_lt_i32 s74, s62                                      // 000000006FA8: BF043E4A
	s_cbranch_scc1 label_0C14                                  // 000000006FAC: BF850028
	s_cmp_eq_i32 s74, s62                                      // 000000006FB0: BF003E4A
	s_cbranch_scc1 label_0BF9                                  // 000000006FB4: BF85000B
	s_add_u32 s62, 4, s47                                      // 000000006FB8: 803E2F84
	s_cmp_lt_i32 s74, s62                                      // 000000006FBC: BF043E4A
	s_cbranch_scc1 label_0C34                                  // 000000006FC0: BF850043
	s_cmp_eq_i32 s74, s62                                      // 000000006FC4: BF003E4A
	s_cbranch_scc1 label_0C19                                  // 000000006FC8: BF850026
	s_add_u32 s62, 8, s47                                      // 000000006FCC: 803E2F88
	s_cmp_lt_i32 s74, s62                                      // 000000006FD0: BF043E4A
	s_cbranch_scc1 label_0C54                                  // 000000006FD4: BF85005E
	s_cmp_eq_i32 s74, s62                                      // 000000006FD8: BF003E4A
	s_cbranch_scc1 label_0C39                                  // 000000006FDC: BF850041
	s_branch label_0C59                                        // 000000006FE0: BF820060

0000000000006fe4 <label_0BF9>:
	v_cndmask_b32_e64 v52, v52, v178, s[60:61]                 // 000000006FE4: D1000034 00F36534
	s_lshl_b32 s60, s60, 1                                     // 000000006FEC: 8E3C813C
	s_lshl_b32 s61, s61, 1                                     // 000000006FF0: 8E3D813D
	s_and_b32 s60, 0xfffeffff, s60                             // 000000006FF4: 863C3CFF FFFEFFFF
	s_and_b32 s61, 0xfffeffff, s61                             // 000000006FFC: 863D3DFF FFFEFFFF
	v_cndmask_b32_e64 v53, v53, v178, s[60:61]                 // 000000007004: D1000035 00F36535
	s_lshl_b32 s60, s60, 1                                     // 00000000700C: 8E3C813C
	s_lshl_b32 s61, s61, 1                                     // 000000007010: 8E3D813D
	s_and_b32 s60, 0xfffeffff, s60                             // 000000007014: 863C3CFF FFFEFFFF
	s_and_b32 s61, 0xfffeffff, s61                             // 00000000701C: 863D3DFF FFFEFFFF
	v_cndmask_b32_e64 v54, v54, v178, s[60:61]                 // 000000007024: D1000036 00F36536
	s_lshl_b32 s60, s60, 1                                     // 00000000702C: 8E3C813C
	s_lshl_b32 s61, s61, 1                                     // 000000007030: 8E3D813D
	s_and_b32 s60, 0xfffeffff, s60                             // 000000007034: 863C3CFF FFFEFFFF
	s_and_b32 s61, 0xfffeffff, s61                             // 00000000703C: 863D3DFF FFFEFFFF
	v_cndmask_b32_e64 v55, v55, v178, s[60:61]                 // 000000007044: D1000037 00F36537
	s_branch label_0C34                                        // 00000000704C: BF820020

0000000000007050 <label_0C14>:
	v_mov_b32_e32 v52, v178                                    // 000000007050: 7E6803B2
	v_mov_b32_e32 v53, v178                                    // 000000007054: 7E6A03B2
	v_mov_b32_e32 v54, v178                                    // 000000007058: 7E6C03B2
	v_mov_b32_e32 v55, v178                                    // 00000000705C: 7E6E03B2
	s_branch label_0C34                                        // 000000007060: BF82001B

0000000000007064 <label_0C19>:
	v_cndmask_b32_e64 v56, v56, v178, s[60:61]                 // 000000007064: D1000038 00F36538
	s_lshl_b32 s60, s60, 1                                     // 00000000706C: 8E3C813C
	s_lshl_b32 s61, s61, 1                                     // 000000007070: 8E3D813D
	s_and_b32 s60, 0xfffeffff, s60                             // 000000007074: 863C3CFF FFFEFFFF
	s_and_b32 s61, 0xfffeffff, s61                             // 00000000707C: 863D3DFF FFFEFFFF
	v_cndmask_b32_e64 v57, v57, v178, s[60:61]                 // 000000007084: D1000039 00F36539
	s_lshl_b32 s60, s60, 1                                     // 00000000708C: 8E3C813C
	s_lshl_b32 s61, s61, 1                                     // 000000007090: 8E3D813D
	s_and_b32 s60, 0xfffeffff, s60                             // 000000007094: 863C3CFF FFFEFFFF
	s_and_b32 s61, 0xfffeffff, s61                             // 00000000709C: 863D3DFF FFFEFFFF
	v_cndmask_b32_e64 v58, v58, v178, s[60:61]                 // 0000000070A4: D100003A 00F3653A
	s_lshl_b32 s60, s60, 1                                     // 0000000070AC: 8E3C813C
	s_lshl_b32 s61, s61, 1                                     // 0000000070B0: 8E3D813D
	s_and_b32 s60, 0xfffeffff, s60                             // 0000000070B4: 863C3CFF FFFEFFFF
	s_and_b32 s61, 0xfffeffff, s61                             // 0000000070BC: 863D3DFF FFFEFFFF
	v_cndmask_b32_e64 v59, v59, v178, s[60:61]                 // 0000000070C4: D100003B 00F3653B
	s_branch label_0C54                                        // 0000000070CC: BF820020

00000000000070d0 <label_0C34>:
	v_mov_b32_e32 v56, v178                                    // 0000000070D0: 7E7003B2
	v_mov_b32_e32 v57, v178                                    // 0000000070D4: 7E7203B2
	v_mov_b32_e32 v58, v178                                    // 0000000070D8: 7E7403B2
	v_mov_b32_e32 v59, v178                                    // 0000000070DC: 7E7603B2
	s_branch label_0C54                                        // 0000000070E0: BF82001B

00000000000070e4 <label_0C39>:
	v_cndmask_b32_e64 v60, v60, v178, s[60:61]                 // 0000000070E4: D100003C 00F3653C
	s_lshl_b32 s60, s60, 1                                     // 0000000070EC: 8E3C813C
	s_lshl_b32 s61, s61, 1                                     // 0000000070F0: 8E3D813D
	s_and_b32 s60, 0xfffeffff, s60                             // 0000000070F4: 863C3CFF FFFEFFFF
	s_and_b32 s61, 0xfffeffff, s61                             // 0000000070FC: 863D3DFF FFFEFFFF
	v_cndmask_b32_e64 v61, v61, v178, s[60:61]                 // 000000007104: D100003D 00F3653D
	s_lshl_b32 s60, s60, 1                                     // 00000000710C: 8E3C813C
	s_lshl_b32 s61, s61, 1                                     // 000000007110: 8E3D813D
	s_and_b32 s60, 0xfffeffff, s60                             // 000000007114: 863C3CFF FFFEFFFF
	s_and_b32 s61, 0xfffeffff, s61                             // 00000000711C: 863D3DFF FFFEFFFF
	v_cndmask_b32_e64 v62, v62, v178, s[60:61]                 // 000000007124: D100003E 00F3653E
	s_lshl_b32 s60, s60, 1                                     // 00000000712C: 8E3C813C
	s_lshl_b32 s61, s61, 1                                     // 000000007130: 8E3D813D
	s_and_b32 s60, 0xfffeffff, s60                             // 000000007134: 863C3CFF FFFEFFFF
	s_and_b32 s61, 0xfffeffff, s61                             // 00000000713C: 863D3DFF FFFEFFFF
	v_cndmask_b32_e64 v63, v63, v178, s[60:61]                 // 000000007144: D100003F 00F3653F
	s_branch label_0C59                                        // 00000000714C: BF820005

0000000000007150 <label_0C54>:
	v_mov_b32_e32 v60, v178                                    // 000000007150: 7E7803B2
	v_mov_b32_e32 v61, v178                                    // 000000007154: 7E7A03B2
	v_mov_b32_e32 v62, v178                                    // 000000007158: 7E7C03B2
	v_mov_b32_e32 v63, v178                                    // 00000000715C: 7E7E03B2
	s_branch label_0C59                                        // 000000007160: BF820000

0000000000007164 <label_0C59>:
	s_addk_i32 s74, 0x1                                        // 000000007164: B74A0001
	s_add_u32 s62, 0, s47                                      // 000000007168: 803E2F80
	s_cmp_lt_i32 s74, s62                                      // 00000000716C: BF043E4A
	s_cbranch_scc1 label_0C85                                  // 000000007170: BF850028
	s_cmp_eq_i32 s74, s62                                      // 000000007174: BF003E4A
	s_cbranch_scc1 label_0C6A                                  // 000000007178: BF85000B
	s_add_u32 s62, 4, s47                                      // 00000000717C: 803E2F84
	s_cmp_lt_i32 s74, s62                                      // 000000007180: BF043E4A
	s_cbranch_scc1 label_0CA5                                  // 000000007184: BF850043
	s_cmp_eq_i32 s74, s62                                      // 000000007188: BF003E4A
	s_cbranch_scc1 label_0C8A                                  // 00000000718C: BF850026
	s_add_u32 s62, 8, s47                                      // 000000007190: 803E2F88
	s_cmp_lt_i32 s74, s62                                      // 000000007194: BF043E4A
	s_cbranch_scc1 label_0CC5                                  // 000000007198: BF85005E
	s_cmp_eq_i32 s74, s62                                      // 00000000719C: BF003E4A
	s_cbranch_scc1 label_0CAA                                  // 0000000071A0: BF850041
	s_branch label_0CCA                                        // 0000000071A4: BF820060

00000000000071a8 <label_0C6A>:
	v_cndmask_b32_e64 v64, v64, v178, s[60:61]                 // 0000000071A8: D1000040 00F36540
	s_lshl_b32 s60, s60, 1                                     // 0000000071B0: 8E3C813C
	s_lshl_b32 s61, s61, 1                                     // 0000000071B4: 8E3D813D
	s_and_b32 s60, 0xfffeffff, s60                             // 0000000071B8: 863C3CFF FFFEFFFF
	s_and_b32 s61, 0xfffeffff, s61                             // 0000000071C0: 863D3DFF FFFEFFFF
	v_cndmask_b32_e64 v65, v65, v178, s[60:61]                 // 0000000071C8: D1000041 00F36541
	s_lshl_b32 s60, s60, 1                                     // 0000000071D0: 8E3C813C
	s_lshl_b32 s61, s61, 1                                     // 0000000071D4: 8E3D813D
	s_and_b32 s60, 0xfffeffff, s60                             // 0000000071D8: 863C3CFF FFFEFFFF
	s_and_b32 s61, 0xfffeffff, s61                             // 0000000071E0: 863D3DFF FFFEFFFF
	v_cndmask_b32_e64 v66, v66, v178, s[60:61]                 // 0000000071E8: D1000042 00F36542
	s_lshl_b32 s60, s60, 1                                     // 0000000071F0: 8E3C813C
	s_lshl_b32 s61, s61, 1                                     // 0000000071F4: 8E3D813D
	s_and_b32 s60, 0xfffeffff, s60                             // 0000000071F8: 863C3CFF FFFEFFFF
	s_and_b32 s61, 0xfffeffff, s61                             // 000000007200: 863D3DFF FFFEFFFF
	v_cndmask_b32_e64 v67, v67, v178, s[60:61]                 // 000000007208: D1000043 00F36543
	s_branch label_0CA5                                        // 000000007210: BF820020

0000000000007214 <label_0C85>:
	v_mov_b32_e32 v64, v178                                    // 000000007214: 7E8003B2
	v_mov_b32_e32 v65, v178                                    // 000000007218: 7E8203B2
	v_mov_b32_e32 v66, v178                                    // 00000000721C: 7E8403B2
	v_mov_b32_e32 v67, v178                                    // 000000007220: 7E8603B2
	s_branch label_0CA5                                        // 000000007224: BF82001B

0000000000007228 <label_0C8A>:
	v_cndmask_b32_e64 v68, v68, v178, s[60:61]                 // 000000007228: D1000044 00F36544
	s_lshl_b32 s60, s60, 1                                     // 000000007230: 8E3C813C
	s_lshl_b32 s61, s61, 1                                     // 000000007234: 8E3D813D
	s_and_b32 s60, 0xfffeffff, s60                             // 000000007238: 863C3CFF FFFEFFFF
	s_and_b32 s61, 0xfffeffff, s61                             // 000000007240: 863D3DFF FFFEFFFF
	v_cndmask_b32_e64 v69, v69, v178, s[60:61]                 // 000000007248: D1000045 00F36545
	s_lshl_b32 s60, s60, 1                                     // 000000007250: 8E3C813C
	s_lshl_b32 s61, s61, 1                                     // 000000007254: 8E3D813D
	s_and_b32 s60, 0xfffeffff, s60                             // 000000007258: 863C3CFF FFFEFFFF
	s_and_b32 s61, 0xfffeffff, s61                             // 000000007260: 863D3DFF FFFEFFFF
	v_cndmask_b32_e64 v70, v70, v178, s[60:61]                 // 000000007268: D1000046 00F36546
	s_lshl_b32 s60, s60, 1                                     // 000000007270: 8E3C813C
	s_lshl_b32 s61, s61, 1                                     // 000000007274: 8E3D813D
	s_and_b32 s60, 0xfffeffff, s60                             // 000000007278: 863C3CFF FFFEFFFF
	s_and_b32 s61, 0xfffeffff, s61                             // 000000007280: 863D3DFF FFFEFFFF
	v_cndmask_b32_e64 v71, v71, v178, s[60:61]                 // 000000007288: D1000047 00F36547
	s_branch label_0CC5                                        // 000000007290: BF820020

0000000000007294 <label_0CA5>:
	v_mov_b32_e32 v68, v178                                    // 000000007294: 7E8803B2
	v_mov_b32_e32 v69, v178                                    // 000000007298: 7E8A03B2
	v_mov_b32_e32 v70, v178                                    // 00000000729C: 7E8C03B2
	v_mov_b32_e32 v71, v178                                    // 0000000072A0: 7E8E03B2
	s_branch label_0CC5                                        // 0000000072A4: BF82001B

00000000000072a8 <label_0CAA>:
	v_cndmask_b32_e64 v72, v72, v178, s[60:61]                 // 0000000072A8: D1000048 00F36548
	s_lshl_b32 s60, s60, 1                                     // 0000000072B0: 8E3C813C
	s_lshl_b32 s61, s61, 1                                     // 0000000072B4: 8E3D813D
	s_and_b32 s60, 0xfffeffff, s60                             // 0000000072B8: 863C3CFF FFFEFFFF
	s_and_b32 s61, 0xfffeffff, s61                             // 0000000072C0: 863D3DFF FFFEFFFF
	v_cndmask_b32_e64 v73, v73, v178, s[60:61]                 // 0000000072C8: D1000049 00F36549
	s_lshl_b32 s60, s60, 1                                     // 0000000072D0: 8E3C813C
	s_lshl_b32 s61, s61, 1                                     // 0000000072D4: 8E3D813D
	s_and_b32 s60, 0xfffeffff, s60                             // 0000000072D8: 863C3CFF FFFEFFFF
	s_and_b32 s61, 0xfffeffff, s61                             // 0000000072E0: 863D3DFF FFFEFFFF
	v_cndmask_b32_e64 v74, v74, v178, s[60:61]                 // 0000000072E8: D100004A 00F3654A
	s_lshl_b32 s60, s60, 1                                     // 0000000072F0: 8E3C813C
	s_lshl_b32 s61, s61, 1                                     // 0000000072F4: 8E3D813D
	s_and_b32 s60, 0xfffeffff, s60                             // 0000000072F8: 863C3CFF FFFEFFFF
	s_and_b32 s61, 0xfffeffff, s61                             // 000000007300: 863D3DFF FFFEFFFF
	v_cndmask_b32_e64 v75, v75, v178, s[60:61]                 // 000000007308: D100004B 00F3654B
	s_branch label_0CCA                                        // 000000007310: BF820005

0000000000007314 <label_0CC5>:
	v_mov_b32_e32 v72, v178                                    // 000000007314: 7E9003B2
	v_mov_b32_e32 v73, v178                                    // 000000007318: 7E9203B2
	v_mov_b32_e32 v74, v178                                    // 00000000731C: 7E9403B2
	v_mov_b32_e32 v75, v178                                    // 000000007320: 7E9603B2
	s_branch label_0CCA                                        // 000000007324: BF820000

0000000000007328 <label_0CCA>:
	s_addk_i32 s74, 0x1                                        // 000000007328: B74A0001
	s_waitcnt lgkmcnt(8)                                       // 00000000732C: BF8CC87F
	s_barrier                                                  // 000000007330: BF8A0000
	v_mfma_f32_16x16x16_bf16 v[76:79], v[108:109], a[72:73], 0 // 000000007334: D3E1004C 1202916C
	ds_read_b128 a[96:99], v18 offset:4352                     // 00000000733C: DBFE1100 60000012
	ds_read_b128 a[100:103], v18 offset:4864                   // 000000007344: DBFE1300 64000012
	v_mfma_f32_16x16x16_bf16 v[76:79], v[110:111], a[74:75], v[76:79]// 00000000734C: D3E1004C 1532956E
	v_fma_f32 v52, v52, s57, -v140                             // 000000007354: D1CB0034 86307334
	v_fma_f32 v53, v53, s57, -v141                             // 00000000735C: D1CB0035 86347335
	v_fma_f32 v54, v54, s57, -v142                             // 000000007364: D1CB0036 86387336
	v_fma_f32 v55, v55, s57, -v143                             // 00000000736C: D1CB0037 863C7337
	v_fma_f32 v56, v56, s57, -v140                             // 000000007374: D1CB0038 86307338
	v_fma_f32 v57, v57, s57, -v141                             // 00000000737C: D1CB0039 86347339
	v_mfma_f32_16x16x16_bf16 v[76:79], v[112:113], a[76:77], v[76:79]// 000000007384: D3E1004C 15329970
	v_fma_f32 v58, v58, s57, -v142                             // 00000000738C: D1CB003A 8638733A
	v_fma_f32 v59, v59, s57, -v143                             // 000000007394: D1CB003B 863C733B
	v_fma_f32 v60, v60, s57, -v140                             // 00000000739C: D1CB003C 8630733C
	v_fma_f32 v61, v61, s57, -v141                             // 0000000073A4: D1CB003D 8634733D
	v_fma_f32 v62, v62, s57, -v142                             // 0000000073AC: D1CB003E 8638733E
	v_fma_f32 v63, v63, s57, -v143                             // 0000000073B4: D1CB003F 863C733F
	v_mfma_f32_16x16x16_bf16 v[76:79], v[114:115], a[78:79], v[76:79]// 0000000073BC: D3E1004C 15329D72
	v_fma_f32 v64, v64, s57, -v144                             // 0000000073C4: D1CB0040 86407340
	v_fma_f32 v65, v65, s57, -v145                             // 0000000073CC: D1CB0041 86447341
	v_fma_f32 v66, v66, s57, -v146                             // 0000000073D4: D1CB0042 86487342
	v_fma_f32 v67, v67, s57, -v147                             // 0000000073DC: D1CB0043 864C7343
	v_fma_f32 v68, v68, s57, -v144                             // 0000000073E4: D1CB0044 86407344
	v_fma_f32 v69, v69, s57, -v145                             // 0000000073EC: D1CB0045 86447345
	v_mfma_f32_16x16x16_bf16 v[80:83], v[108:109], a[80:81], 0 // 0000000073F4: D3E10050 1202A16C
	ds_read_b128 a[104:107], v18 offset:6528                   // 0000000073FC: DBFE1980 68000012
	ds_read_b128 a[108:111], v18 offset:7040                   // 000000007404: DBFE1B80 6C000012
	v_mfma_f32_16x16x16_bf16 v[80:83], v[110:111], a[82:83], v[80:83]// 00000000740C: D3E10050 1542A56E
	v_fma_f32 v70, v70, s57, -v146                             // 000000007414: D1CB0046 86487346
	v_fma_f32 v71, v71, s57, -v147                             // 00000000741C: D1CB0047 864C7347
	v_fma_f32 v72, v72, s57, -v144                             // 000000007424: D1CB0048 86407348
	v_fma_f32 v73, v73, s57, -v145                             // 00000000742C: D1CB0049 86447349
	v_fma_f32 v74, v74, s57, -v146                             // 000000007434: D1CB004A 8648734A
	v_fma_f32 v75, v75, s57, -v147                             // 00000000743C: D1CB004B 864C734B
	v_mfma_f32_16x16x16_bf16 v[80:83], v[112:113], a[84:85], v[80:83]// 000000007444: D3E10050 1542A970
	v_exp_f32_e32 v52, v52                                     // 00000000744C: 7E684134
	v_exp_f32_e32 v53, v53                                     // 000000007450: 7E6A4135
	v_mfma_f32_16x16x16_bf16 v[80:83], v[114:115], a[86:87], v[80:83]// 000000007454: D3E10050 1542AD72
	v_exp_f32_e32 v54, v54                                     // 00000000745C: 7E6C4136
	v_exp_f32_e32 v55, v55                                     // 000000007460: 7E6E4137
	v_mfma_f32_16x16x16_bf16 v[84:87], v[108:109], a[88:89], 0 // 000000007464: D3E10054 1202B16C
	ds_read_b32 v156, v25 offset:31232                         // 00000000746C: D86C7A00 9C000019
	ds_read_b32 v157, v25 offset:31248                         // 000000007474: D86C7A10 9D000019
	v_mfma_f32_16x16x16_bf16 v[84:87], v[110:111], a[90:91], v[84:87]// 00000000747C: D3E10054 1552B56E
	v_exp_f32_e32 v56, v56                                     // 000000007484: 7E704138
	v_exp_f32_e32 v57, v57                                     // 000000007488: 7E724139
	v_mfma_f32_16x16x16_bf16 v[84:87], v[112:113], a[92:93], v[84:87]// 00000000748C: D3E10054 1552B970
	ds_read_b32 v158, v25 offset:31264                         // 000000007494: D86C7A20 9E000019
	ds_read_b32 v159, v25 offset:31280                         // 00000000749C: D86C7A30 9F000019
	v_mfma_f32_16x16x16_bf16 v[84:87], v[114:115], a[94:95], v[84:87]// 0000000074A4: D3E10054 1552BD72
	v_exp_f32_e32 v58, v58                                     // 0000000074AC: 7E74413A
	v_exp_f32_e32 v59, v59                                     // 0000000074B0: 7E76413B
	v_mfma_f32_16x16x16_bf16 v[88:91], v[116:117], a[72:73], 0 // 0000000074B4: D3E10058 12029174
	v_exp_f32_e32 v60, v60                                     // 0000000074BC: 7E78413C
	v_exp_f32_e32 v61, v61                                     // 0000000074C0: 7E7A413D
	v_mfma_f32_16x16x16_bf16 v[88:91], v[118:119], a[74:75], v[88:91]// 0000000074C4: D3E10058 15629576
	v_exp_f32_e32 v62, v62                                     // 0000000074CC: 7E7C413E
	v_exp_f32_e32 v63, v63                                     // 0000000074D0: 7E7E413F
	v_mfma_f32_16x16x16_bf16 v[88:91], v[120:121], a[76:77], v[88:91]// 0000000074D4: D3E10058 15629978
	v_exp_f32_e32 v64, v64                                     // 0000000074DC: 7E804140
	v_exp_f32_e32 v65, v65                                     // 0000000074E0: 7E824141
	v_mfma_f32_16x16x16_bf16 v[88:91], v[122:123], a[78:79], v[88:91]// 0000000074E4: D3E10058 15629D7A
	v_exp_f32_e32 v66, v66                                     // 0000000074EC: 7E844142
	v_exp_f32_e32 v67, v67                                     // 0000000074F0: 7E864143
	v_mfma_f32_16x16x16_bf16 v[92:95], v[116:117], a[80:81], 0 // 0000000074F4: D3E1005C 1202A174
	v_exp_f32_e32 v68, v68                                     // 0000000074FC: 7E884144
	v_exp_f32_e32 v69, v69                                     // 000000007500: 7E8A4145
	v_mfma_f32_16x16x16_bf16 v[92:95], v[118:119], a[82:83], v[92:95]// 000000007504: D3E1005C 1572A576
	v_exp_f32_e32 v70, v70                                     // 00000000750C: 7E8C4146
	v_exp_f32_e32 v71, v71                                     // 000000007510: 7E8E4147
	v_mfma_f32_16x16x16_bf16 v[92:95], v[120:121], a[84:85], v[92:95]// 000000007514: D3E1005C 1572A978
	v_exp_f32_e32 v72, v72                                     // 00000000751C: 7E904148
	v_exp_f32_e32 v73, v73                                     // 000000007520: 7E924149
	v_mfma_f32_16x16x16_bf16 v[92:95], v[122:123], a[86:87], v[92:95]// 000000007524: D3E1005C 1572AD7A
	v_exp_f32_e32 v74, v74                                     // 00000000752C: 7E94414A
	v_exp_f32_e32 v75, v75                                     // 000000007530: 7E96414B
	v_mfma_f32_16x16x16_bf16 v[96:99], v[116:117], a[88:89], 0 // 000000007534: D3E10060 1202B174
	v_cmp_u_f32_e64 s[78:79], v52, v52                         // 00000000753C: D048004E 00026934
	v_bfe_u32 v228, v52, 16, 1                                 // 000000007544: D1C800E4 02052134
	v_add3_u32 v228, v52, v228, v231                           // 00000000754C: D1FF00E4 079FC934
	v_cndmask_b32_e64 v32, v228, v230, s[78:79]                // 000000007554: D1000020 013BCDE4
	v_lshrrev_b32_e32 v32, 16, v32                             // 00000000755C: 20404090
	v_cmp_u_f32_e64 s[78:79], v53, v53                         // 000000007560: D048004E 00026B35
	v_bfe_u32 v228, v53, 16, 1                                 // 000000007568: D1C800E4 02052135
	v_add3_u32 v228, v53, v228, v231                           // 000000007570: D1FF00E4 079FC935
	v_cndmask_b32_e64 v33, v228, v230, s[78:79]                // 000000007578: D1000021 013BCDE4
	v_and_or_b32 v164, v33, v229, v32                          // 000000007580: D20100A4 0483CB21
	v_cmp_u_f32_e64 s[78:79], v54, v54                         // 000000007588: D048004E 00026D36
	v_bfe_u32 v228, v54, 16, 1                                 // 000000007590: D1C800E4 02052136
	v_add3_u32 v228, v54, v228, v231                           // 000000007598: D1FF00E4 079FC936
	v_cndmask_b32_e64 v32, v228, v230, s[78:79]                // 0000000075A0: D1000020 013BCDE4
	v_lshrrev_b32_e32 v32, 16, v32                             // 0000000075A8: 20404090
	v_cmp_u_f32_e64 s[78:79], v55, v55                         // 0000000075AC: D048004E 00026F37
	v_bfe_u32 v228, v55, 16, 1                                 // 0000000075B4: D1C800E4 02052137
	v_add3_u32 v228, v55, v228, v231                           // 0000000075BC: D1FF00E4 079FC937
	v_cndmask_b32_e64 v33, v228, v230, s[78:79]                // 0000000075C4: D1000021 013BCDE4
	v_and_or_b32 v165, v33, v229, v32                          // 0000000075CC: D20100A5 0483CB21
	v_cmp_u_f32_e64 s[78:79], v56, v56                         // 0000000075D4: D048004E 00027138
	v_bfe_u32 v228, v56, 16, 1                                 // 0000000075DC: D1C800E4 02052138
	v_add3_u32 v228, v56, v228, v231                           // 0000000075E4: D1FF00E4 079FC938
	v_cndmask_b32_e64 v32, v228, v230, s[78:79]                // 0000000075EC: D1000020 013BCDE4
	v_lshrrev_b32_e32 v32, 16, v32                             // 0000000075F4: 20404090
	v_cmp_u_f32_e64 s[78:79], v57, v57                         // 0000000075F8: D048004E 00027339
	v_bfe_u32 v228, v57, 16, 1                                 // 000000007600: D1C800E4 02052139
	v_add3_u32 v228, v57, v228, v231                           // 000000007608: D1FF00E4 079FC939
	v_cndmask_b32_e64 v33, v228, v230, s[78:79]                // 000000007610: D1000021 013BCDE4
	v_and_or_b32 v166, v33, v229, v32                          // 000000007618: D20100A6 0483CB21
	v_cmp_u_f32_e64 s[78:79], v58, v58                         // 000000007620: D048004E 0002753A
	v_bfe_u32 v228, v58, 16, 1                                 // 000000007628: D1C800E4 0205213A
	v_add3_u32 v228, v58, v228, v231                           // 000000007630: D1FF00E4 079FC93A
	v_cndmask_b32_e64 v32, v228, v230, s[78:79]                // 000000007638: D1000020 013BCDE4
	v_lshrrev_b32_e32 v32, 16, v32                             // 000000007640: 20404090
	v_cmp_u_f32_e64 s[78:79], v59, v59                         // 000000007644: D048004E 0002773B
	v_bfe_u32 v228, v59, 16, 1                                 // 00000000764C: D1C800E4 0205213B
	v_add3_u32 v228, v59, v228, v231                           // 000000007654: D1FF00E4 079FC93B
	v_cndmask_b32_e64 v33, v228, v230, s[78:79]                // 00000000765C: D1000021 013BCDE4
	v_and_or_b32 v167, v33, v229, v32                          // 000000007664: D20100A7 0483CB21
	v_cmp_u_f32_e64 s[78:79], v60, v60                         // 00000000766C: D048004E 0002793C
	v_bfe_u32 v228, v60, 16, 1                                 // 000000007674: D1C800E4 0205213C
	v_add3_u32 v228, v60, v228, v231                           // 00000000767C: D1FF00E4 079FC93C
	v_cndmask_b32_e64 v32, v228, v230, s[78:79]                // 000000007684: D1000020 013BCDE4
	v_lshrrev_b32_e32 v32, 16, v32                             // 00000000768C: 20404090
	v_cmp_u_f32_e64 s[78:79], v61, v61                         // 000000007690: D048004E 00027B3D
	v_bfe_u32 v228, v61, 16, 1                                 // 000000007698: D1C800E4 0205213D
	v_add3_u32 v228, v61, v228, v231                           // 0000000076A0: D1FF00E4 079FC93D
	v_cndmask_b32_e64 v33, v228, v230, s[78:79]                // 0000000076A8: D1000021 013BCDE4
	v_and_or_b32 v168, v33, v229, v32                          // 0000000076B0: D20100A8 0483CB21
	v_cmp_u_f32_e64 s[78:79], v62, v62                         // 0000000076B8: D048004E 00027D3E
	v_bfe_u32 v228, v62, 16, 1                                 // 0000000076C0: D1C800E4 0205213E
	v_add3_u32 v228, v62, v228, v231                           // 0000000076C8: D1FF00E4 079FC93E
	v_cndmask_b32_e64 v32, v228, v230, s[78:79]                // 0000000076D0: D1000020 013BCDE4
	v_lshrrev_b32_e32 v32, 16, v32                             // 0000000076D8: 20404090
	v_cmp_u_f32_e64 s[78:79], v63, v63                         // 0000000076DC: D048004E 00027F3F
	v_bfe_u32 v228, v63, 16, 1                                 // 0000000076E4: D1C800E4 0205213F
	v_add3_u32 v228, v63, v228, v231                           // 0000000076EC: D1FF00E4 079FC93F
	v_cndmask_b32_e64 v33, v228, v230, s[78:79]                // 0000000076F4: D1000021 013BCDE4
	v_and_or_b32 v169, v33, v229, v32                          // 0000000076FC: D20100A9 0483CB21
	v_mfma_f32_16x16x16_bf16 v[96:99], v[118:119], a[90:91], v[96:99]// 000000007704: D3E10060 1582B576
	v_cmp_u_f32_e64 s[78:79], v64, v64                         // 00000000770C: D048004E 00028140
	v_bfe_u32 v228, v64, 16, 1                                 // 000000007714: D1C800E4 02052140
	v_add3_u32 v228, v64, v228, v231                           // 00000000771C: D1FF00E4 079FC940
	v_cndmask_b32_e64 v32, v228, v230, s[78:79]                // 000000007724: D1000020 013BCDE4
	v_lshrrev_b32_e32 v32, 16, v32                             // 00000000772C: 20404090
	v_cmp_u_f32_e64 s[78:79], v65, v65                         // 000000007730: D048004E 00028341
	v_bfe_u32 v228, v65, 16, 1                                 // 000000007738: D1C800E4 02052141
	v_add3_u32 v228, v65, v228, v231                           // 000000007740: D1FF00E4 079FC941
	v_cndmask_b32_e64 v33, v228, v230, s[78:79]                // 000000007748: D1000021 013BCDE4
	v_and_or_b32 v170, v33, v229, v32                          // 000000007750: D20100AA 0483CB21
	v_cmp_u_f32_e64 s[78:79], v66, v66                         // 000000007758: D048004E 00028542
	v_bfe_u32 v228, v66, 16, 1                                 // 000000007760: D1C800E4 02052142
	v_add3_u32 v228, v66, v228, v231                           // 000000007768: D1FF00E4 079FC942
	v_cndmask_b32_e64 v32, v228, v230, s[78:79]                // 000000007770: D1000020 013BCDE4
	v_lshrrev_b32_e32 v32, 16, v32                             // 000000007778: 20404090
	v_cmp_u_f32_e64 s[78:79], v67, v67                         // 00000000777C: D048004E 00028743
	v_bfe_u32 v228, v67, 16, 1                                 // 000000007784: D1C800E4 02052143
	v_add3_u32 v228, v67, v228, v231                           // 00000000778C: D1FF00E4 079FC943
	v_cndmask_b32_e64 v33, v228, v230, s[78:79]                // 000000007794: D1000021 013BCDE4
	v_and_or_b32 v171, v33, v229, v32                          // 00000000779C: D20100AB 0483CB21
	v_cmp_u_f32_e64 s[78:79], v68, v68                         // 0000000077A4: D048004E 00028944
	v_bfe_u32 v228, v68, 16, 1                                 // 0000000077AC: D1C800E4 02052144
	v_add3_u32 v228, v68, v228, v231                           // 0000000077B4: D1FF00E4 079FC944
	v_cndmask_b32_e64 v32, v228, v230, s[78:79]                // 0000000077BC: D1000020 013BCDE4
	v_lshrrev_b32_e32 v32, 16, v32                             // 0000000077C4: 20404090
	v_cmp_u_f32_e64 s[78:79], v69, v69                         // 0000000077C8: D048004E 00028B45
	v_bfe_u32 v228, v69, 16, 1                                 // 0000000077D0: D1C800E4 02052145
	v_add3_u32 v228, v69, v228, v231                           // 0000000077D8: D1FF00E4 079FC945
	v_cndmask_b32_e64 v33, v228, v230, s[78:79]                // 0000000077E0: D1000021 013BCDE4
	v_and_or_b32 v172, v33, v229, v32                          // 0000000077E8: D20100AC 0483CB21
	v_cmp_u_f32_e64 s[78:79], v70, v70                         // 0000000077F0: D048004E 00028D46
	v_bfe_u32 v228, v70, 16, 1                                 // 0000000077F8: D1C800E4 02052146
	v_add3_u32 v228, v70, v228, v231                           // 000000007800: D1FF00E4 079FC946
	v_cndmask_b32_e64 v32, v228, v230, s[78:79]                // 000000007808: D1000020 013BCDE4
	v_lshrrev_b32_e32 v32, 16, v32                             // 000000007810: 20404090
	v_cmp_u_f32_e64 s[78:79], v71, v71                         // 000000007814: D048004E 00028F47
	v_bfe_u32 v228, v71, 16, 1                                 // 00000000781C: D1C800E4 02052147
	v_add3_u32 v228, v71, v228, v231                           // 000000007824: D1FF00E4 079FC947
	v_cndmask_b32_e64 v33, v228, v230, s[78:79]                // 00000000782C: D1000021 013BCDE4
	v_and_or_b32 v173, v33, v229, v32                          // 000000007834: D20100AD 0483CB21
	v_cmp_u_f32_e64 s[78:79], v72, v72                         // 00000000783C: D048004E 00029148
	v_bfe_u32 v228, v72, 16, 1                                 // 000000007844: D1C800E4 02052148
	v_add3_u32 v228, v72, v228, v231                           // 00000000784C: D1FF00E4 079FC948
	v_cndmask_b32_e64 v32, v228, v230, s[78:79]                // 000000007854: D1000020 013BCDE4
	v_lshrrev_b32_e32 v32, 16, v32                             // 00000000785C: 20404090
	v_cmp_u_f32_e64 s[78:79], v73, v73                         // 000000007860: D048004E 00029349
	v_bfe_u32 v228, v73, 16, 1                                 // 000000007868: D1C800E4 02052149
	v_add3_u32 v228, v73, v228, v231                           // 000000007870: D1FF00E4 079FC949
	v_cndmask_b32_e64 v33, v228, v230, s[78:79]                // 000000007878: D1000021 013BCDE4
	v_and_or_b32 v174, v33, v229, v32                          // 000000007880: D20100AE 0483CB21
	v_cmp_u_f32_e64 s[78:79], v74, v74                         // 000000007888: D048004E 0002954A
	v_bfe_u32 v228, v74, 16, 1                                 // 000000007890: D1C800E4 0205214A
	v_add3_u32 v228, v74, v228, v231                           // 000000007898: D1FF00E4 079FC94A
	v_cndmask_b32_e64 v32, v228, v230, s[78:79]                // 0000000078A0: D1000020 013BCDE4
	v_lshrrev_b32_e32 v32, 16, v32                             // 0000000078A8: 20404090
	v_cmp_u_f32_e64 s[78:79], v75, v75                         // 0000000078AC: D048004E 0002974B
	v_bfe_u32 v228, v75, 16, 1                                 // 0000000078B4: D1C800E4 0205214B
	v_add3_u32 v228, v75, v228, v231                           // 0000000078BC: D1FF00E4 079FC94B
	v_cndmask_b32_e64 v33, v228, v230, s[78:79]                // 0000000078C4: D1000021 013BCDE4
	v_and_or_b32 v175, v33, v229, v32                          // 0000000078CC: D20100AF 0483CB21
	v_mfma_f32_16x16x16_bf16 v[96:99], v[120:121], a[92:93], v[96:99]// 0000000078D4: D3E10060 1582B978
	s_add_u32 s32, s66, s32                                    // 0000000078DC: 80202042
	s_addc_u32 s33, 0, s33                                     // 0000000078E0: 82212180
	v_mfma_f32_16x16x16_bf16 v[96:99], v[122:123], a[94:95], v[96:99]// 0000000078E4: D3E10060 1582BD7A
	s_waitcnt lgkmcnt(0)                                       // 0000000078EC: BF8CC07F
	s_barrier                                                  // 0000000078F0: BF8A0000
	v_mfma_f32_16x16x16_bf16 v[180:183], v[124:125], v[164:165], v[180:183]// 0000000078F4: D3E100B4 06D3497C
	v_subrev_f32_dpp v76, v176, v76 quad_perm:[0,0,0,0] row_mask:0xf bank_mask:0xf// 0000000078FC: 069898FA FF0000B0
	v_subrev_f32_dpp v77, v176, v77 quad_perm:[1,1,1,1] row_mask:0xf bank_mask:0xf// 000000007904: 069A9AFA FF0055B0
	v_subrev_f32_dpp v78, v176, v78 quad_perm:[2,2,2,2] row_mask:0xf bank_mask:0xf// 00000000790C: 069C9CFA FF00AAB0
	v_subrev_f32_dpp v79, v176, v79 quad_perm:[3,3,3,3] row_mask:0xf bank_mask:0xf// 000000007914: 069E9EFA FF00FFB0
	v_subrev_f32_dpp v80, v176, v80 quad_perm:[0,0,0,0] row_mask:0xf bank_mask:0xf// 00000000791C: 06A0A0FA FF0000B0
	v_subrev_f32_dpp v81, v176, v81 quad_perm:[1,1,1,1] row_mask:0xf bank_mask:0xf// 000000007924: 06A2A2FA FF0055B0
	v_mfma_f32_16x16x16_bf16 v[184:187], v[126:127], v[164:165], v[184:187]// 00000000792C: D3E100B8 06E3497E
	v_subrev_f32_dpp v82, v176, v82 quad_perm:[2,2,2,2] row_mask:0xf bank_mask:0xf// 000000007934: 06A4A4FA FF00AAB0
	v_subrev_f32_dpp v83, v176, v83 quad_perm:[3,3,3,3] row_mask:0xf bank_mask:0xf// 00000000793C: 06A6A6FA FF00FFB0
	v_subrev_f32_dpp v84, v176, v84 quad_perm:[0,0,0,0] row_mask:0xf bank_mask:0xf// 000000007944: 06A8A8FA FF0000B0
	v_subrev_f32_dpp v85, v176, v85 quad_perm:[1,1,1,1] row_mask:0xf bank_mask:0xf// 00000000794C: 06AAAAFA FF0055B0
	v_subrev_f32_dpp v86, v176, v86 quad_perm:[2,2,2,2] row_mask:0xf bank_mask:0xf// 000000007954: 06ACACFA FF00AAB0
	v_subrev_f32_dpp v87, v176, v87 quad_perm:[3,3,3,3] row_mask:0xf bank_mask:0xf// 00000000795C: 06AEAEFA FF00FFB0
	v_mfma_f32_16x16x16_bf16 v[188:191], v[128:129], v[164:165], v[188:191]// 000000007964: D3E100BC 06F34980
	v_mul_f32_e32 v76, v52, v76                                // 00000000796C: 0A989934
	v_mul_f32_e32 v77, v53, v77                                // 000000007970: 0A9A9B35
	v_mul_f32_e32 v78, v54, v78                                // 000000007974: 0A9C9D36
	v_mul_f32_e32 v79, v55, v79                                // 000000007978: 0A9E9F37
	v_mul_f32_e32 v80, v56, v80                                // 00000000797C: 0AA0A138
	v_mul_f32_e32 v81, v57, v81                                // 000000007980: 0AA2A339
	v_mfma_f32_16x16x16_bf16 v[192:195], v[130:131], v[164:165], v[192:195]// 000000007984: D3E100C0 07034982
	v_mul_f32_e32 v82, v58, v82                                // 00000000798C: 0AA4A53A
	v_mul_f32_e32 v83, v59, v83                                // 000000007990: 0AA6A73B
	v_mul_f32_e32 v84, v60, v84                                // 000000007994: 0AA8A93C
	v_mul_f32_e32 v85, v61, v85                                // 000000007998: 0AAAAB3D
	v_mul_f32_e32 v86, v62, v86                                // 00000000799C: 0AACAD3E
	v_mul_f32_e32 v87, v63, v87                                // 0000000079A0: 0AAEAF3F
	v_mfma_f32_16x16x16_bf16 v[196:199], v[124:125], v[166:167], v[196:199]// 0000000079A4: D3E100C4 07134D7C
	v_cmp_u_f32_e64 s[78:79], v76, v76                         // 0000000079AC: D048004E 0002994C
	v_bfe_u32 v228, v76, 16, 1                                 // 0000000079B4: D1C800E4 0205214C
	v_add3_u32 v228, v76, v228, v231                           // 0000000079BC: D1FF00E4 079FC94C
	v_cndmask_b32_e64 v32, v228, v230, s[78:79]                // 0000000079C4: D1000020 013BCDE4
	v_lshrrev_b32_e32 v32, 16, v32                             // 0000000079CC: 20404090
	v_cmp_u_f32_e64 s[78:79], v77, v77                         // 0000000079D0: D048004E 00029B4D
	v_bfe_u32 v228, v77, 16, 1                                 // 0000000079D8: D1C800E4 0205214D
	v_add3_u32 v228, v77, v228, v231                           // 0000000079E0: D1FF00E4 079FC94D
	v_cndmask_b32_e64 v33, v228, v230, s[78:79]                // 0000000079E8: D1000021 013BCDE4
	v_and_or_b32 v76, v33, v229, v32                           // 0000000079F0: D201004C 0483CB21
	v_cmp_u_f32_e64 s[78:79], v78, v78                         // 0000000079F8: D048004E 00029D4E
	v_bfe_u32 v228, v78, 16, 1                                 // 000000007A00: D1C800E4 0205214E
	v_add3_u32 v228, v78, v228, v231                           // 000000007A08: D1FF00E4 079FC94E
	v_cndmask_b32_e64 v32, v228, v230, s[78:79]                // 000000007A10: D1000020 013BCDE4
	v_lshrrev_b32_e32 v32, 16, v32                             // 000000007A18: 20404090
	v_cmp_u_f32_e64 s[78:79], v79, v79                         // 000000007A1C: D048004E 00029F4F
	v_bfe_u32 v228, v79, 16, 1                                 // 000000007A24: D1C800E4 0205214F
	v_add3_u32 v228, v79, v228, v231                           // 000000007A2C: D1FF00E4 079FC94F
	v_cndmask_b32_e64 v33, v228, v230, s[78:79]                // 000000007A34: D1000021 013BCDE4
	v_and_or_b32 v77, v33, v229, v32                           // 000000007A3C: D201004D 0483CB21
	v_cmp_u_f32_e64 s[78:79], v80, v80                         // 000000007A44: D048004E 0002A150
	v_bfe_u32 v228, v80, 16, 1                                 // 000000007A4C: D1C800E4 02052150
	v_add3_u32 v228, v80, v228, v231                           // 000000007A54: D1FF00E4 079FC950
	v_cndmask_b32_e64 v32, v228, v230, s[78:79]                // 000000007A5C: D1000020 013BCDE4
	v_lshrrev_b32_e32 v32, 16, v32                             // 000000007A64: 20404090
	v_cmp_u_f32_e64 s[78:79], v81, v81                         // 000000007A68: D048004E 0002A351
	v_bfe_u32 v228, v81, 16, 1                                 // 000000007A70: D1C800E4 02052151
	v_add3_u32 v228, v81, v228, v231                           // 000000007A78: D1FF00E4 079FC951
	v_cndmask_b32_e64 v33, v228, v230, s[78:79]                // 000000007A80: D1000021 013BCDE4
	v_and_or_b32 v78, v33, v229, v32                           // 000000007A88: D201004E 0483CB21
	v_cmp_u_f32_e64 s[78:79], v82, v82                         // 000000007A90: D048004E 0002A552
	v_bfe_u32 v228, v82, 16, 1                                 // 000000007A98: D1C800E4 02052152
	v_add3_u32 v228, v82, v228, v231                           // 000000007AA0: D1FF00E4 079FC952
	v_cndmask_b32_e64 v32, v228, v230, s[78:79]                // 000000007AA8: D1000020 013BCDE4
	v_lshrrev_b32_e32 v32, 16, v32                             // 000000007AB0: 20404090
	v_cmp_u_f32_e64 s[78:79], v83, v83                         // 000000007AB4: D048004E 0002A753
	v_bfe_u32 v228, v83, 16, 1                                 // 000000007ABC: D1C800E4 02052153
	v_add3_u32 v228, v83, v228, v231                           // 000000007AC4: D1FF00E4 079FC953
	v_cndmask_b32_e64 v33, v228, v230, s[78:79]                // 000000007ACC: D1000021 013BCDE4
	v_and_or_b32 v79, v33, v229, v32                           // 000000007AD4: D201004F 0483CB21
	v_cmp_u_f32_e64 s[78:79], v84, v84                         // 000000007ADC: D048004E 0002A954
	v_bfe_u32 v228, v84, 16, 1                                 // 000000007AE4: D1C800E4 02052154
	v_add3_u32 v228, v84, v228, v231                           // 000000007AEC: D1FF00E4 079FC954
	v_cndmask_b32_e64 v32, v228, v230, s[78:79]                // 000000007AF4: D1000020 013BCDE4
	v_lshrrev_b32_e32 v32, 16, v32                             // 000000007AFC: 20404090
	v_cmp_u_f32_e64 s[78:79], v85, v85                         // 000000007B00: D048004E 0002AB55
	v_bfe_u32 v228, v85, 16, 1                                 // 000000007B08: D1C800E4 02052155
	v_add3_u32 v228, v85, v228, v231                           // 000000007B10: D1FF00E4 079FC955
	v_cndmask_b32_e64 v33, v228, v230, s[78:79]                // 000000007B18: D1000021 013BCDE4
	v_and_or_b32 v80, v33, v229, v32                           // 000000007B20: D2010050 0483CB21
	v_cmp_u_f32_e64 s[78:79], v86, v86                         // 000000007B28: D048004E 0002AD56
	v_bfe_u32 v228, v86, 16, 1                                 // 000000007B30: D1C800E4 02052156
	v_add3_u32 v228, v86, v228, v231                           // 000000007B38: D1FF00E4 079FC956
	v_cndmask_b32_e64 v32, v228, v230, s[78:79]                // 000000007B40: D1000020 013BCDE4
	v_lshrrev_b32_e32 v32, 16, v32                             // 000000007B48: 20404090
	v_cmp_u_f32_e64 s[78:79], v87, v87                         // 000000007B4C: D048004E 0002AF57
	v_bfe_u32 v228, v87, 16, 1                                 // 000000007B54: D1C800E4 02052157
	v_add3_u32 v228, v87, v228, v231                           // 000000007B5C: D1FF00E4 079FC957
	v_cndmask_b32_e64 v33, v228, v230, s[78:79]                // 000000007B64: D1000021 013BCDE4
	v_and_or_b32 v81, v33, v229, v32                           // 000000007B6C: D2010051 0483CB21
	v_mfma_f32_16x16x16_bf16 v[200:203], v[126:127], v[166:167], v[200:203]// 000000007B74: D3E100C8 07234D7E
	v_mov_b32_dpp v22, v76 quad_perm:[1,0,3,2] row_mask:0xf bank_mask:0xf// 000000007B7C: 7E2C02FA FF00B14C
	v_perm_b32 v52, v22, v76, v21                              // 000000007B84: D1ED0034 04569916
	v_mov_b32_dpp v22, v77 quad_perm:[1,0,3,2] row_mask:0xf bank_mask:0xf// 000000007B8C: 7E2C02FA FF00B14D
	v_perm_b32 v53, v22, v77, v21                              // 000000007B94: D1ED0035 04569B16
	v_mov_b32_dpp v22, v78 quad_perm:[1,0,3,2] row_mask:0xf bank_mask:0xf// 000000007B9C: 7E2C02FA FF00B14E
	v_perm_b32 v54, v22, v78, v21                              // 000000007BA4: D1ED0036 04569D16
	v_mfma_f32_16x16x16_bf16 v[204:207], v[128:129], v[166:167], v[204:207]// 000000007BAC: D3E100CC 07334D80
	v_mov_b32_dpp v22, v79 quad_perm:[1,0,3,2] row_mask:0xf bank_mask:0xf// 000000007BB4: 7E2C02FA FF00B14F
	v_perm_b32 v55, v22, v79, v21                              // 000000007BBC: D1ED0037 04569F16
	v_mov_b32_dpp v22, v80 quad_perm:[1,0,3,2] row_mask:0xf bank_mask:0xf// 000000007BC4: 7E2C02FA FF00B150
	v_perm_b32 v56, v22, v80, v21                              // 000000007BCC: D1ED0038 0456A116
	v_mov_b32_dpp v22, v81 quad_perm:[1,0,3,2] row_mask:0xf bank_mask:0xf// 000000007BD4: 7E2C02FA FF00B151
	v_perm_b32 v57, v22, v81, v21                              // 000000007BDC: D1ED0039 0456A316
	v_mfma_f32_16x16x16_bf16 v[208:211], v[130:131], v[166:167], v[208:211]// 000000007BE4: D3E100D0 07434D82
	ds_write_b32 v24, v52 offset:17408                         // 000000007BEC: D81A4400 00003418
	ds_write_b32 v24, v53 offset:17952                         // 000000007BF4: D81A4620 00003518
	v_mfma_f32_16x16x16_bf16 v[212:215], v[124:125], v[168:169], v[212:215]// 000000007BFC: D3E100D4 0753517C
	v_subrev_f32_dpp v88, v177, v88 quad_perm:[0,0,0,0] row_mask:0xf bank_mask:0xf// 000000007C04: 06B0B0FA FF0000B1
	v_subrev_f32_dpp v89, v177, v89 quad_perm:[1,1,1,1] row_mask:0xf bank_mask:0xf// 000000007C0C: 06B2B2FA FF0055B1
	v_subrev_f32_dpp v90, v177, v90 quad_perm:[2,2,2,2] row_mask:0xf bank_mask:0xf// 000000007C14: 06B4B4FA FF00AAB1
	v_subrev_f32_dpp v91, v177, v91 quad_perm:[3,3,3,3] row_mask:0xf bank_mask:0xf// 000000007C1C: 06B6B6FA FF00FFB1
	v_subrev_f32_dpp v92, v177, v92 quad_perm:[0,0,0,0] row_mask:0xf bank_mask:0xf// 000000007C24: 06B8B8FA FF0000B1
	v_subrev_f32_dpp v93, v177, v93 quad_perm:[1,1,1,1] row_mask:0xf bank_mask:0xf// 000000007C2C: 06BABAFA FF0055B1
	v_mfma_f32_16x16x16_bf16 v[216:219], v[126:127], v[168:169], v[216:219]// 000000007C34: D3E100D8 0763517E
	ds_write_b32 v24, v54 offset:19712                         // 000000007C3C: D81A4D00 00003618
	ds_write_b32 v24, v55 offset:20256                         // 000000007C44: D81A4F20 00003718
	v_mfma_f32_16x16x16_bf16 v[220:223], v[128:129], v[168:169], v[220:223]// 000000007C4C: D3E100DC 07735180
	v_subrev_f32_dpp v94, v177, v94 quad_perm:[2,2,2,2] row_mask:0xf bank_mask:0xf// 000000007C54: 06BCBCFA FF00AAB1
	v_subrev_f32_dpp v95, v177, v95 quad_perm:[3,3,3,3] row_mask:0xf bank_mask:0xf// 000000007C5C: 06BEBEFA FF00FFB1
	v_subrev_f32_dpp v96, v177, v96 quad_perm:[0,0,0,0] row_mask:0xf bank_mask:0xf// 000000007C64: 06C0C0FA FF0000B1
	v_subrev_f32_dpp v97, v177, v97 quad_perm:[1,1,1,1] row_mask:0xf bank_mask:0xf// 000000007C6C: 06C2C2FA FF0055B1
	v_subrev_f32_dpp v98, v177, v98 quad_perm:[2,2,2,2] row_mask:0xf bank_mask:0xf// 000000007C74: 06C4C4FA FF00AAB1
	v_subrev_f32_dpp v99, v177, v99 quad_perm:[3,3,3,3] row_mask:0xf bank_mask:0xf// 000000007C7C: 06C6C6FA FF00FFB1
	v_mfma_f32_16x16x16_bf16 v[224:227], v[130:131], v[168:169], v[224:227]// 000000007C84: D3E100E0 07835182
	ds_write_b32 v24, v56 offset:22016                         // 000000007C8C: D81A5600 00003818
	ds_write_b32 v24, v57 offset:22560                         // 000000007C94: D81A5820 00003918
	v_mfma_f32_16x16x16_bf16 v[180:183], v[132:133], v[170:171], v[180:183]// 000000007C9C: D3E100B4 06D35584
	v_mul_f32_e32 v88, v64, v88                                // 000000007CA4: 0AB0B140
	v_mul_f32_e32 v89, v65, v89                                // 000000007CA8: 0AB2B341
	v_mul_f32_e32 v90, v66, v90                                // 000000007CAC: 0AB4B542
	v_mul_f32_e32 v91, v67, v91                                // 000000007CB0: 0AB6B743
	v_mul_f32_e32 v92, v68, v92                                // 000000007CB4: 0AB8B944
	v_mul_f32_e32 v93, v69, v93                                // 000000007CB8: 0ABABB45
	v_mfma_f32_16x16x16_bf16 v[184:187], v[134:135], v[170:171], v[184:187]// 000000007CBC: D3E100B8 06E35586
	v_mul_f32_e32 v94, v70, v94                                // 000000007CC4: 0ABCBD46
	v_mul_f32_e32 v95, v71, v95                                // 000000007CC8: 0ABEBF47
	v_mul_f32_e32 v96, v72, v96                                // 000000007CCC: 0AC0C148
	v_mul_f32_e32 v97, v73, v97                                // 000000007CD0: 0AC2C349
	v_mul_f32_e32 v98, v74, v98                                // 000000007CD4: 0AC4C54A
	v_mul_f32_e32 v99, v75, v99                                // 000000007CD8: 0AC6C74B
	v_mfma_f32_16x16x16_bf16 v[188:191], v[136:137], v[170:171], v[188:191]// 000000007CDC: D3E100BC 06F35588
	v_cmp_u_f32_e64 s[78:79], v88, v88                         // 000000007CE4: D048004E 0002B158
	v_bfe_u32 v228, v88, 16, 1                                 // 000000007CEC: D1C800E4 02052158
	v_add3_u32 v228, v88, v228, v231                           // 000000007CF4: D1FF00E4 079FC958
	v_cndmask_b32_e64 v32, v228, v230, s[78:79]                // 000000007CFC: D1000020 013BCDE4
	v_lshrrev_b32_e32 v32, 16, v32                             // 000000007D04: 20404090
	v_cmp_u_f32_e64 s[78:79], v89, v89                         // 000000007D08: D048004E 0002B359
	v_bfe_u32 v228, v89, 16, 1                                 // 000000007D10: D1C800E4 02052159
	v_add3_u32 v228, v89, v228, v231                           // 000000007D18: D1FF00E4 079FC959
	v_cndmask_b32_e64 v33, v228, v230, s[78:79]                // 000000007D20: D1000021 013BCDE4
	v_and_or_b32 v82, v33, v229, v32                           // 000000007D28: D2010052 0483CB21
	v_cmp_u_f32_e64 s[78:79], v90, v90                         // 000000007D30: D048004E 0002B55A
	v_bfe_u32 v228, v90, 16, 1                                 // 000000007D38: D1C800E4 0205215A
	v_add3_u32 v228, v90, v228, v231                           // 000000007D40: D1FF00E4 079FC95A
	v_cndmask_b32_e64 v32, v228, v230, s[78:79]                // 000000007D48: D1000020 013BCDE4
	v_lshrrev_b32_e32 v32, 16, v32                             // 000000007D50: 20404090
	v_cmp_u_f32_e64 s[78:79], v91, v91                         // 000000007D54: D048004E 0002B75B
	v_bfe_u32 v228, v91, 16, 1                                 // 000000007D5C: D1C800E4 0205215B
	v_add3_u32 v228, v91, v228, v231                           // 000000007D64: D1FF00E4 079FC95B
	v_cndmask_b32_e64 v33, v228, v230, s[78:79]                // 000000007D6C: D1000021 013BCDE4
	v_and_or_b32 v83, v33, v229, v32                           // 000000007D74: D2010053 0483CB21
	v_cmp_u_f32_e64 s[78:79], v92, v92                         // 000000007D7C: D048004E 0002B95C
	v_bfe_u32 v228, v92, 16, 1                                 // 000000007D84: D1C800E4 0205215C
	v_add3_u32 v228, v92, v228, v231                           // 000000007D8C: D1FF00E4 079FC95C
	v_cndmask_b32_e64 v32, v228, v230, s[78:79]                // 000000007D94: D1000020 013BCDE4
	v_lshrrev_b32_e32 v32, 16, v32                             // 000000007D9C: 20404090
	v_cmp_u_f32_e64 s[78:79], v93, v93                         // 000000007DA0: D048004E 0002BB5D
	v_bfe_u32 v228, v93, 16, 1                                 // 000000007DA8: D1C800E4 0205215D
	v_add3_u32 v228, v93, v228, v231                           // 000000007DB0: D1FF00E4 079FC95D
	v_cndmask_b32_e64 v33, v228, v230, s[78:79]                // 000000007DB8: D1000021 013BCDE4
	v_and_or_b32 v84, v33, v229, v32                           // 000000007DC0: D2010054 0483CB21
	v_cmp_u_f32_e64 s[78:79], v94, v94                         // 000000007DC8: D048004E 0002BD5E
	v_bfe_u32 v228, v94, 16, 1                                 // 000000007DD0: D1C800E4 0205215E
	v_add3_u32 v228, v94, v228, v231                           // 000000007DD8: D1FF00E4 079FC95E
	v_cndmask_b32_e64 v32, v228, v230, s[78:79]                // 000000007DE0: D1000020 013BCDE4
	v_lshrrev_b32_e32 v32, 16, v32                             // 000000007DE8: 20404090
	v_cmp_u_f32_e64 s[78:79], v95, v95                         // 000000007DEC: D048004E 0002BF5F
	v_bfe_u32 v228, v95, 16, 1                                 // 000000007DF4: D1C800E4 0205215F
	v_add3_u32 v228, v95, v228, v231                           // 000000007DFC: D1FF00E4 079FC95F
	v_cndmask_b32_e64 v33, v228, v230, s[78:79]                // 000000007E04: D1000021 013BCDE4
	v_and_or_b32 v85, v33, v229, v32                           // 000000007E0C: D2010055 0483CB21
	v_cmp_u_f32_e64 s[78:79], v96, v96                         // 000000007E14: D048004E 0002C160
	v_bfe_u32 v228, v96, 16, 1                                 // 000000007E1C: D1C800E4 02052160
	v_add3_u32 v228, v96, v228, v231                           // 000000007E24: D1FF00E4 079FC960
	v_cndmask_b32_e64 v32, v228, v230, s[78:79]                // 000000007E2C: D1000020 013BCDE4
	v_lshrrev_b32_e32 v32, 16, v32                             // 000000007E34: 20404090
	v_cmp_u_f32_e64 s[78:79], v97, v97                         // 000000007E38: D048004E 0002C361
	v_bfe_u32 v228, v97, 16, 1                                 // 000000007E40: D1C800E4 02052161
	v_add3_u32 v228, v97, v228, v231                           // 000000007E48: D1FF00E4 079FC961
	v_cndmask_b32_e64 v33, v228, v230, s[78:79]                // 000000007E50: D1000021 013BCDE4
	v_and_or_b32 v86, v33, v229, v32                           // 000000007E58: D2010056 0483CB21
	v_cmp_u_f32_e64 s[78:79], v98, v98                         // 000000007E60: D048004E 0002C562
	v_bfe_u32 v228, v98, 16, 1                                 // 000000007E68: D1C800E4 02052162
	v_add3_u32 v228, v98, v228, v231                           // 000000007E70: D1FF00E4 079FC962
	v_cndmask_b32_e64 v32, v228, v230, s[78:79]                // 000000007E78: D1000020 013BCDE4
	v_lshrrev_b32_e32 v32, 16, v32                             // 000000007E80: 20404090
	v_cmp_u_f32_e64 s[78:79], v99, v99                         // 000000007E84: D048004E 0002C763
	v_bfe_u32 v228, v99, 16, 1                                 // 000000007E8C: D1C800E4 02052163
	v_add3_u32 v228, v99, v228, v231                           // 000000007E94: D1FF00E4 079FC963
	v_cndmask_b32_e64 v33, v228, v230, s[78:79]                // 000000007E9C: D1000021 013BCDE4
	v_and_or_b32 v87, v33, v229, v32                           // 000000007EA4: D2010057 0483CB21
	v_mfma_f32_16x16x16_bf16 v[192:195], v[138:139], v[170:171], v[192:195]// 000000007EAC: D3E100C0 0703558A
	v_mov_b32_dpp v22, v82 quad_perm:[1,0,3,2] row_mask:0xf bank_mask:0xf// 000000007EB4: 7E2C02FA FF00B152
	v_perm_b32 v58, v22, v82, v21                              // 000000007EBC: D1ED003A 0456A516
	v_mov_b32_dpp v22, v83 quad_perm:[1,0,3,2] row_mask:0xf bank_mask:0xf// 000000007EC4: 7E2C02FA FF00B153
	v_perm_b32 v59, v22, v83, v21                              // 000000007ECC: D1ED003B 0456A716
	v_mov_b32_dpp v22, v84 quad_perm:[1,0,3,2] row_mask:0xf bank_mask:0xf// 000000007ED4: 7E2C02FA FF00B154
	v_perm_b32 v60, v22, v84, v21                              // 000000007EDC: D1ED003C 0456A916
	v_mfma_f32_16x16x16_bf16 v[196:199], v[132:133], v[172:173], v[196:199]// 000000007EE4: D3E100C4 07135984
	v_mov_b32_dpp v22, v85 quad_perm:[1,0,3,2] row_mask:0xf bank_mask:0xf// 000000007EEC: 7E2C02FA FF00B155
	v_perm_b32 v61, v22, v85, v21                              // 000000007EF4: D1ED003D 0456AB16
	v_mov_b32_dpp v22, v86 quad_perm:[1,0,3,2] row_mask:0xf bank_mask:0xf// 000000007EFC: 7E2C02FA FF00B156
	v_perm_b32 v62, v22, v86, v21                              // 000000007F04: D1ED003E 0456AD16
	v_mov_b32_dpp v22, v87 quad_perm:[1,0,3,2] row_mask:0xf bank_mask:0xf// 000000007F0C: 7E2C02FA FF00B157
	v_perm_b32 v63, v22, v87, v21                              // 000000007F14: D1ED003F 0456AF16
	v_mfma_f32_16x16x16_bf16 v[200:203], v[134:135], v[172:173], v[200:203]// 000000007F1C: D3E100C8 07235986
	ds_write_b32 v24, v58 offset:24320                         // 000000007F24: D81A5F00 00003A18
	ds_write_b32 v24, v59 offset:24864                         // 000000007F2C: D81A6120 00003B18
	v_mfma_f32_16x16x16_bf16 v[204:207], v[136:137], v[172:173], v[204:207]// 000000007F34: D3E100CC 07335988
	v_mfma_f32_16x16x16_bf16 v[208:211], v[138:139], v[172:173], v[208:211]// 000000007F3C: D3E100D0 0743598A
	ds_write_b32 v24, v60 offset:26624                         // 000000007F44: D81A6800 00003C18
	ds_write_b32 v24, v61 offset:27168                         // 000000007F4C: D81A6A20 00003D18
	ds_write_b32 v24, v62 offset:28928                         // 000000007F54: D81A7100 00003E18
	ds_write_b32 v24, v63 offset:29472                         // 000000007F5C: D81A7320 00003F18
	v_mfma_f32_16x16x16_bf16 v[212:215], v[132:133], v[174:175], v[212:215]// 000000007F64: D3E100D4 07535D84
	v_mfma_f32_16x16x16_bf16 v[216:219], v[134:135], v[174:175], v[216:219]// 000000007F6C: D3E100D8 07635D86
	ds_write_b32 v19, v100 offset:4352                         // 000000007F74: D81A1100 00006413
	ds_write_b32 v19, v101 offset:5408                         // 000000007F7C: D81A1520 00006513
	v_mfma_f32_16x16x16_bf16 v[220:223], v[136:137], v[174:175], v[220:223]// 000000007F84: D3E100DC 07735D88
	s_nop 0                                                    // 000000007F8C: BF800000
	s_nop 0                                                    // 000000007F90: BF800000
	s_nop 0                                                    // 000000007F94: BF800000
	v_mfma_f32_16x16x16_bf16 v[224:227], v[138:139], v[174:175], v[224:227]// 000000007F98: D3E100E0 07835D8A
	ds_write_b32 v19, v102 offset:6528                         // 000000007FA0: D81A1980 00006613
	ds_write_b32 v19, v103 offset:7584                         // 000000007FA8: D81A1DA0 00006713
	s_barrier                                                  // 000000007FB0: BF8A0000
	v_mfma_f32_16x16x16_bf16 a[112:115], a[96:97], v[76:77], a[112:115]// 000000007FB4: D3E18070 0DC29960
	global_atomic_pk_add_bf16 v6, v156, s[32:33]               // 000000007FBC: DD488000 00209C06
	v_mfma_f32_16x16x16_bf16 a[116:119], a[98:99], v[76:77], a[116:119]// 000000007FC4: D3E18074 0DD29962
	ds_read_b32 v140, v27 offset:35584                         // 000000007FCC: D86C8B00 8C00001B
	ds_read_b32 v144, v27 offset:35648                         // 000000007FD4: D86C8B40 9000001B
	ds_read_b32 v176, v27 offset:35840                         // 000000007FDC: D86C8C00 B000001B
	ds_read_b32 v177, v27 offset:35904                         // 000000007FE4: D86C8C40 B100001B
	v_mfma_f32_16x16x16_bf16 a[120:123], a[100:101], v[76:77], a[120:123]// 000000007FEC: D3E18078 0DE29964
	s_waitcnt lgkmcnt(8)                                       // 000000007FF4: BF8CC87F
	s_barrier                                                  // 000000007FF8: BF8A0000
	v_mfma_f32_16x16x16_bf16 a[124:127], a[102:103], v[76:77], a[124:127]// 000000007FFC: D3E1807C 0DF29966
	ds_read_b128 v[52:55], v23 offset:17408                    // 000000008004: D9FE4400 34000017
	v_mfma_f32_16x16x16_bf16 a[128:131], a[96:97], v[78:79], a[128:131]// 00000000800C: D3E18080 0E029D60
	v_mfma_f32_16x16x16_bf16 a[132:135], a[98:99], v[78:79], a[132:135]// 000000008014: D3E18084 0E129D62
	ds_read_b128 v[56:59], v23 offset:18560                    // 00000000801C: D9FE4880 38000017
	v_mfma_f32_16x16x16_bf16 a[136:139], a[100:101], v[78:79], a[136:139]// 000000008024: D3E18088 0E229D64
	global_atomic_pk_add_bf16 v8, v157, s[32:33]               // 00000000802C: DD488000 00209D08
	v_mfma_f32_16x16x16_bf16 a[140:143], a[102:103], v[78:79], a[140:143]// 000000008034: D3E1808C 0E329D66
	ds_read_b128 v[60:63], v23 offset:19712                    // 00000000803C: D9FE4D00 3C000017
	v_mfma_f32_16x16x16_bf16 a[144:147], a[96:97], v[80:81], a[144:147]// 000000008044: D3E18090 0E42A160
	v_mfma_f32_16x16x16_bf16 a[148:151], a[98:99], v[80:81], a[148:151]// 00000000804C: D3E18094 0E52A162
	ds_read_b128 v[64:67], v23 offset:20864                    // 000000008054: D9FE5180 40000017
	v_mfma_f32_16x16x16_bf16 a[152:155], a[100:101], v[80:81], a[152:155]// 00000000805C: D3E18098 0E62A164
	v_mfma_f32_16x16x16_bf16 a[156:159], a[102:103], v[80:81], a[156:159]// 000000008064: D3E1809C 0E72A166
	ds_read_b128 v[68:71], v23 offset:22016                    // 00000000806C: D9FE5600 44000017
	v_mfma_f32_16x16x16_bf16 a[112:115], a[104:105], v[82:83], a[112:115]// 000000008074: D3E18070 0DC2A568
	global_atomic_pk_add_bf16 v10, v158, s[32:33]              // 00000000807C: DD488000 00209E0A
	v_mfma_f32_16x16x16_bf16 a[116:119], a[106:107], v[82:83], a[116:119]// 000000008084: D3E18074 0DD2A56A
	ds_read_b128 v[72:75], v23 offset:23168                    // 00000000808C: D9FE5A80 48000017
	v_mfma_f32_16x16x16_bf16 a[120:123], a[108:109], v[82:83], a[120:123]// 000000008094: D3E18078 0DE2A56C
	v_mfma_f32_16x16x16_bf16 a[124:127], a[110:111], v[82:83], a[124:127]// 00000000809C: D3E1807C 0DF2A56E
	ds_write_b32 v19, v104 offset:13056                        // 0000000080A4: D81A3300 00006813
	v_mfma_f32_16x16x16_bf16 a[128:131], a[104:105], v[84:85], a[128:131]// 0000000080AC: D3E18080 0E02A968
	v_mfma_f32_16x16x16_bf16 a[132:135], a[106:107], v[84:85], a[132:135]// 0000000080B4: D3E18084 0E12A96A
	ds_write_b32 v19, v105 offset:14112                        // 0000000080BC: D81A3720 00006913
	v_mfma_f32_16x16x16_bf16 a[136:139], a[108:109], v[84:85], a[136:139]// 0000000080C4: D3E18088 0E22A96C
	global_atomic_pk_add_bf16 v12, v159, s[32:33]              // 0000000080CC: DD488000 00209F0C
	v_mfma_f32_16x16x16_bf16 a[140:143], a[110:111], v[84:85], a[140:143]// 0000000080D4: D3E1808C 0E32A96E
	ds_write_b32 v19, v106 offset:15232                        // 0000000080DC: D81A3B80 00006A13
	v_mfma_f32_16x16x16_bf16 a[144:147], a[104:105], v[86:87], a[144:147]// 0000000080E4: D3E18090 0E42AD68
	v_mfma_f32_16x16x16_bf16 a[148:151], a[106:107], v[86:87], a[148:151]// 0000000080EC: D3E18094 0E52AD6A
	ds_write_b32 v19, v107 offset:16288                        // 0000000080F4: D81A3FA0 00006B13
	v_mfma_f32_16x16x16_bf16 a[152:155], a[108:109], v[86:87], a[152:155]// 0000000080FC: D3E18098 0E62AD6C
	v_mfma_f32_16x16x16_bf16 a[156:159], a[110:111], v[86:87], a[156:159]// 000000008104: D3E1809C 0E72AD6E
	s_waitcnt vmcnt(4) lgkmcnt(4)                              // 00000000810C: BF8C0474
	s_barrier                                                  // 000000008110: BF8A0000
	v_mfma_f32_16x16x16_bf16 v[148:151], a[24:25], v[52:53], 0 // 000000008114: D3E10094 0A026918
	v_mul_f32_e32 v140, s49, v140                              // 00000000811C: 0B191831
	v_mul_f32_e32 v144, s49, v144                              // 000000008120: 0B212031
	s_nop 0                                                    // 000000008124: BF800000
	v_mfma_f32_16x16x16_bf16 v[148:151], a[28:29], v[54:55], v[148:151]// 000000008128: D3E10094 0E526D1C
	ds_read_b128 a[96:99], v16                                 // 000000008130: DBFE0000 60000010
	buffer_load_dword v36, v1, s[8:11], 0 idxen                // 000000008138: E0502000 80022401
	v_mfma_f32_16x16x16_bf16 v[148:151], a[32:33], v[56:57], v[148:151]// 000000008140: D3E10094 0E527120
	v_mfma_f32_16x16x16_bf16 v[148:151], a[36:37], v[58:59], v[148:151]// 000000008148: D3E10094 0E527524
	ds_read_b128 a[100:103], v16 offset:512                    // 000000008150: DBFE0200 64000010
	buffer_load_dword v37, v2, s[8:11], 0 idxen                // 000000008158: E0502000 80022502
	v_mfma_f32_16x16x16_bf16 v[148:151], a[40:41], v[60:61], v[148:151]// 000000008160: D3E10094 0E527928
	v_perm_b32 v100, v41, v40, s63                             // 000000008168: D1ED0064 00FE5129
	v_perm_b32 v101, v41, v40, s64                             // 000000008170: D1ED0065 01025129
	v_mfma_f32_16x16x16_bf16 v[148:151], a[44:45], v[62:63], v[148:151]// 000000008178: D3E10094 0E527D2C
	ds_read_b128 a[104:107], v16 offset:2176                   // 000000008180: DBFE0880 68000010
	buffer_load_dword v38, v3, s[8:11], 0 idxen                // 000000008188: E0502000 80022603
	v_mfma_f32_16x16x16_bf16 v[148:151], a[48:49], v[64:65], v[148:151]// 000000008190: D3E10094 0E528130
	v_perm_b32 v102, v43, v42, s63                             // 000000008198: D1ED0066 00FE552B
	v_perm_b32 v103, v43, v42, s64                             // 0000000081A0: D1ED0067 0102552B
	v_mfma_f32_16x16x16_bf16 v[148:151], a[52:53], v[66:67], v[148:151]// 0000000081A8: D3E10094 0E528534
	ds_read_b128 a[108:111], v16 offset:2688                   // 0000000081B0: DBFE0A80 6C000010
	buffer_load_dword v39, v4, s[8:11], 0 idxen                // 0000000081B8: E0502000 80022704
	v_mfma_f32_16x16x16_bf16 v[148:151], a[56:57], v[68:69], v[148:151]// 0000000081C0: D3E10094 0E528938
	v_perm_b32 v104, v49, v48, s63                             // 0000000081C8: D1ED0068 00FE6131
	v_perm_b32 v105, v49, v48, s64                             // 0000000081D0: D1ED0069 01026131
	v_mfma_f32_16x16x16_bf16 v[148:151], a[60:61], v[70:71], v[148:151]// 0000000081D8: D3E10094 0E528D3C
	ds_read_b128 v[108:111], v16 offset:8704                   // 0000000081E0: D9FE2200 6C000010
	buffer_load_dword v44, v1, s[20:23], 0 idxen               // 0000000081E8: E0502000 80052C01
	v_mfma_f32_16x16x16_bf16 v[148:151], a[64:65], v[72:73], v[148:151]// 0000000081F0: D3E10094 0E529140
	v_perm_b32 v106, v51, v50, s63                             // 0000000081F8: D1ED006A 00FE6533
	v_perm_b32 v107, v51, v50, s64                             // 000000008200: D1ED006B 01026533
	v_mfma_f32_16x16x16_bf16 v[148:151], a[68:69], v[74:75], v[148:151]// 000000008208: D3E10094 0E529544
	ds_read_b128 v[112:115], v16 offset:9216                   // 000000008210: D9FE2400 70000010
	buffer_load_dword v45, v2, s[20:23], 0 idxen               // 000000008218: E0502000 80052D02
	v_mfma_f32_16x16x16_bf16 v[152:155], a[26:27], v[52:53], 0 // 000000008220: D3E10098 0A02691A
	v_mov_b32_dpp v143, v140 quad_perm:[3,3,3,3] row_mask:0xf bank_mask:0xf// 000000008228: 7F1E02FA FF00FF8C
	v_mov_b32_dpp v142, v140 quad_perm:[2,2,2,2] row_mask:0xf bank_mask:0xf// 000000008230: 7F1C02FA FF00AA8C
	v_mov_b32_dpp v141, v140 quad_perm:[1,1,1,1] row_mask:0xf bank_mask:0xf// 000000008238: 7F1A02FA FF00558C
	v_mov_b32_dpp v140, v140 quad_perm:[0,0,0,0] row_mask:0xf bank_mask:0xf// 000000008240: 7F1802FA FF00008C
	v_mfma_f32_16x16x16_bf16 v[152:155], a[30:31], v[54:55], v[152:155]// 000000008248: D3E10098 0E626D1E
	ds_read_b128 v[116:119], v16 offset:10880                  // 000000008250: D9FE2A80 74000010
	buffer_load_dword v46, v3, s[20:23], 0 idxen               // 000000008258: E0502000 80052E03
	v_mfma_f32_16x16x16_bf16 v[152:155], a[34:35], v[56:57], v[152:155]// 000000008260: D3E10098 0E627122
	v_mov_b32_dpp v147, v144 quad_perm:[3,3,3,3] row_mask:0xf bank_mask:0xf// 000000008268: 7F2602FA FF00FF90
	v_mov_b32_dpp v146, v144 quad_perm:[2,2,2,2] row_mask:0xf bank_mask:0xf// 000000008270: 7F2402FA FF00AA90
	v_mov_b32_dpp v145, v144 quad_perm:[1,1,1,1] row_mask:0xf bank_mask:0xf// 000000008278: 7F2202FA FF005590
	v_mov_b32_dpp v144, v144 quad_perm:[0,0,0,0] row_mask:0xf bank_mask:0xf// 000000008280: 7F2002FA FF000090
	s_add_u32 s60, 0x80, s59                                   // 000000008288: 803C3BFF 00000080
	v_mfma_f32_16x16x16_bf16 v[152:155], a[38:39], v[58:59], v[152:155]// 000000008290: D3E10098 0E627526
	ds_read_b128 v[120:123], v16 offset:11392                  // 000000008298: D9FE2C80 78000010
	buffer_load_dword v47, v4, s[20:23], 0 idxen               // 0000000082A0: E0502000 80052F04
	v_mfma_f32_16x16x16_bf16 v[152:155], a[42:43], v[60:61], v[152:155]// 0000000082A8: D3E10098 0E62792A
	s_cmp_lt_u32 s60, s58                                      // 0000000082B0: BF0A3A3C
	s_cselect_b32 s68, s68, 0                                  // 0000000082B4: 85448044
	s_cselect_b32 s69, s69, 0                                  // 0000000082B8: 85458045
	v_mfma_f32_16x16x16_bf16 v[152:155], a[46:47], v[62:63], v[152:155]// 0000000082BC: D3E10098 0E627D2E
	buffer_load_dword v15, s[24:27], 0 idxen lds               // 0000000082C4: E0512000 8006000F
	v_mfma_f32_16x16x16_bf16 v[152:155], a[50:51], v[64:65], v[152:155]// 0000000082CC: D3E10098 0E628132
	s_add_u32 s8, s68, s8                                      // 0000000082D4: 80080844
	s_addc_u32 s9, 0, s9                                       // 0000000082D8: 82090980
	v_mfma_f32_16x16x16_bf16 v[152:155], a[54:55], v[66:67], v[152:155]// 0000000082DC: D3E10098 0E628536
	s_add_u32 s20, s68, s20                                    // 0000000082E4: 80141444
	s_addc_u32 s21, 0, s21                                     // 0000000082E8: 82151580
	v_mfma_f32_16x16x16_bf16 v[152:155], a[58:59], v[68:69], v[152:155]// 0000000082EC: D3E10098 0E62893A
	s_mov_b32 m0, s81                                          // 0000000082F4: BEFC0051
	v_add_u32_e32 v15, s69, v15                                // 0000000082F8: 681E1E45
	v_mfma_f32_16x16x16_bf16 v[152:155], a[62:63], v[70:71], v[152:155]// 0000000082FC: D3E10098 0E628D3E
	s_cmp_ge_u32 s59, s73                                      // 000000008304: BF09493B
	s_cselect_b32 s66, s67, s66                                // 000000008308: 85424243
	v_mfma_f32_16x16x16_bf16 v[152:155], a[66:67], v[72:73], v[152:155]// 00000000830C: D3E10098 0E629142
	s_addk_i32 s59, 0x20                                       // 000000008314: B73B0020
	s_nop 0                                                    // 000000008318: BF800000
	s_cmp_lt_i32 s59, s58                                      // 00000000831C: BF043A3B
	v_mfma_f32_16x16x16_bf16 v[152:155], a[70:71], v[74:75], v[152:155]// 000000008320: D3E10098 0E629546
	s_cbranch_scc0 label_10CC                                  // 000000008328: BF840001
	s_branch label_05B5                                        // 00000000832C: BF82F4E9

0000000000008330 <label_10CC>:
	s_nop 0                                                    // 000000008330: BF800000
	s_nop 0                                                    // 000000008334: BF800000
	s_branch label_1BE6                                        // 000000008338: BF820B17

000000000000833c <label_10CF>:
	s_waitcnt lgkmcnt(4)                                       // 00000000833C: BF8CC47F
	s_barrier                                                  // 000000008340: BF8A0000
	v_mfma_f32_16x16x16_bf16 v[52:55], a[96:97], a[0:1], 0     // 000000008344: D3E10034 1A020160
	v_mul_f32_e32 v148, s48, v148                              // 00000000834C: 0B292830
	v_mul_f32_e32 v149, s48, v149                              // 000000008350: 0B2B2A30
	v_mfma_f32_16x16x16_bf16 v[52:55], a[98:99], a[2:3], v[52:55]// 000000008354: D3E10034 1CD20562
	ds_write_b32 v17, v48 offset:8704                          // 00000000835C: D81A2200 00003011
	ds_write_b32 v17, v49 offset:9760                          // 000000008364: D81A2620 00003111
	v_mfma_f32_16x16x16_bf16 v[52:55], a[100:101], a[4:5], v[52:55]// 00000000836C: D3E10034 1CD20964
	v_mul_f32_e32 v150, s48, v150                              // 000000008374: 0B2D2C30
	v_mul_f32_e32 v151, s48, v151                              // 000000008378: 0B2F2E30
	v_mfma_f32_16x16x16_bf16 v[52:55], a[102:103], a[6:7], v[52:55]// 00000000837C: D3E10034 1CD20D66
	ds_write_b32 v17, v50 offset:10880                         // 000000008384: D81A2A80 00003211
	ds_write_b32 v17, v51 offset:11936                         // 00000000838C: D81A2EA0 00003311
	v_mfma_f32_16x16x16_bf16 v[56:59], a[96:97], a[8:9], 0     // 000000008394: D3E10038 1A021160
	v_mul_f32_e32 v152, s48, v152                              // 00000000839C: 0B313030
	v_mul_f32_e32 v153, s48, v153                              // 0000000083A0: 0B333230
	v_mfma_f32_16x16x16_bf16 v[56:59], a[98:99], a[10:11], v[56:59]// 0000000083A4: D3E10038 1CE21562
	v_mul_f32_e32 v154, s48, v154                              // 0000000083AC: 0B353430
	v_mul_f32_e32 v155, s48, v155                              // 0000000083B0: 0B373630
	v_mfma_f32_16x16x16_bf16 v[56:59], a[100:101], a[12:13], v[56:59]// 0000000083B4: D3E10038 1CE21964
	v_cmp_u_f32_e64 s[78:79], v148, v148                       // 0000000083BC: D048004E 00032994
	v_bfe_u32 v228, v148, 16, 1                                // 0000000083C4: D1C800E4 02052194
	v_add3_u32 v228, v148, v228, v231                          // 0000000083CC: D1FF00E4 079FC994
	v_cndmask_b32_e64 v32, v228, v230, s[78:79]                // 0000000083D4: D1000020 013BCDE4
	v_lshrrev_b32_e32 v32, 16, v32                             // 0000000083DC: 20404090
	v_cmp_u_f32_e64 s[78:79], v149, v149                       // 0000000083E0: D048004E 00032B95
	v_bfe_u32 v228, v149, 16, 1                                // 0000000083E8: D1C800E4 02052195
	v_add3_u32 v228, v149, v228, v231                          // 0000000083F0: D1FF00E4 079FC995
	v_cndmask_b32_e64 v33, v228, v230, s[78:79]                // 0000000083F8: D1000021 013BCDE4
	v_and_or_b32 v148, v33, v229, v32                          // 000000008400: D2010094 0483CB21
	v_cmp_u_f32_e64 s[78:79], v150, v150                       // 000000008408: D048004E 00032D96
	v_bfe_u32 v228, v150, 16, 1                                // 000000008410: D1C800E4 02052196
	v_add3_u32 v228, v150, v228, v231                          // 000000008418: D1FF00E4 079FC996
	v_cndmask_b32_e64 v32, v228, v230, s[78:79]                // 000000008420: D1000020 013BCDE4
	v_lshrrev_b32_e32 v32, 16, v32                             // 000000008428: 20404090
	v_cmp_u_f32_e64 s[78:79], v151, v151                       // 00000000842C: D048004E 00032F97
	v_bfe_u32 v228, v151, 16, 1                                // 000000008434: D1C800E4 02052197
	v_add3_u32 v228, v151, v228, v231                          // 00000000843C: D1FF00E4 079FC997
	v_cndmask_b32_e64 v33, v228, v230, s[78:79]                // 000000008444: D1000021 013BCDE4
	v_and_or_b32 v149, v33, v229, v32                          // 00000000844C: D2010095 0483CB21
	v_mfma_f32_16x16x16_bf16 v[56:59], a[102:103], a[14:15], v[56:59]// 000000008454: D3E10038 1CE21D66
	v_cmp_u_f32_e64 s[78:79], v152, v152                       // 00000000845C: D048004E 00033198
	v_bfe_u32 v228, v152, 16, 1                                // 000000008464: D1C800E4 02052198
	v_add3_u32 v228, v152, v228, v231                          // 00000000846C: D1FF00E4 079FC998
	v_cndmask_b32_e64 v32, v228, v230, s[78:79]                // 000000008474: D1000020 013BCDE4
	v_lshrrev_b32_e32 v32, 16, v32                             // 00000000847C: 20404090
	v_cmp_u_f32_e64 s[78:79], v153, v153                       // 000000008480: D048004E 00033399
	v_bfe_u32 v228, v153, 16, 1                                // 000000008488: D1C800E4 02052199
	v_add3_u32 v228, v153, v228, v231                          // 000000008490: D1FF00E4 079FC999
	v_cndmask_b32_e64 v33, v228, v230, s[78:79]                // 000000008498: D1000021 013BCDE4
	v_and_or_b32 v150, v33, v229, v32                          // 0000000084A0: D2010096 0483CB21
	v_cmp_u_f32_e64 s[78:79], v154, v154                       // 0000000084A8: D048004E 0003359A
	v_bfe_u32 v228, v154, 16, 1                                // 0000000084B0: D1C800E4 0205219A
	v_add3_u32 v228, v154, v228, v231                          // 0000000084B8: D1FF00E4 079FC99A
	v_cndmask_b32_e64 v32, v228, v230, s[78:79]                // 0000000084C0: D1000020 013BCDE4
	v_lshrrev_b32_e32 v32, 16, v32                             // 0000000084C8: 20404090
	v_cmp_u_f32_e64 s[78:79], v155, v155                       // 0000000084CC: D048004E 0003379B
	v_bfe_u32 v228, v155, 16, 1                                // 0000000084D4: D1C800E4 0205219B
	v_add3_u32 v228, v155, v228, v231                          // 0000000084DC: D1FF00E4 079FC99B
	v_cndmask_b32_e64 v33, v228, v230, s[78:79]                // 0000000084E4: D1000021 013BCDE4
	v_and_or_b32 v151, v33, v229, v32                          // 0000000084EC: D2010097 0483CB21
	v_mfma_f32_16x16x16_bf16 v[60:63], a[96:97], a[16:17], 0   // 0000000084F4: D3E1003C 1A022160
	v_mfma_f32_16x16x16_bf16 v[60:63], a[98:99], a[18:19], v[60:63]// 0000000084FC: D3E1003C 1CF22562
	ds_write_b64 v26, v[148:149] offset:31232                  // 000000008504: D89A7A00 0000941A
	v_mfma_f32_16x16x16_bf16 v[60:63], a[100:101], a[20:21], v[60:63]// 00000000850C: D3E1003C 1CF22964
	v_mfma_f32_16x16x16_bf16 v[60:63], a[102:103], a[22:23], v[60:63]// 000000008514: D3E1003C 1CF22D66
	ds_write_b64 v26, v[150:151] offset:31776                  // 00000000851C: D89A7C20 0000961A
	v_mfma_f32_16x16x16_bf16 v[64:67], a[104:105], a[0:1], 0   // 000000008524: D3E10040 1A020168
	v_mfma_f32_16x16x16_bf16 v[64:67], a[106:107], a[2:3], v[64:67]// 00000000852C: D3E10040 1D02056A
	ds_read_b128 v[124:127], v18 offset:13056                  // 000000008534: D9FE3300 7C000012
	ds_write_b32 v17, v40                                      // 00000000853C: D81A0000 00002811
	v_mfma_f32_16x16x16_bf16 v[64:67], a[108:109], a[4:5], v[64:67]// 000000008544: D3E10040 1D02096C
	v_mfma_f32_16x16x16_bf16 v[64:67], a[110:111], a[6:7], v[64:67]// 00000000854C: D3E10040 1D020D6E
	v_mfma_f32_16x16x16_bf16 v[68:71], a[104:105], a[8:9], 0   // 000000008554: D3E10044 1A021168
	ds_read_b128 v[128:131], v18 offset:13568                  // 00000000855C: D9FE3500 80000012
	ds_write_b32 v17, v41 offset:1056                          // 000000008564: D81A0420 00002911
	v_mfma_f32_16x16x16_bf16 v[68:71], a[106:107], a[10:11], v[68:71]// 00000000856C: D3E10044 1D12156A
	v_mfma_f32_16x16x16_bf16 v[68:71], a[108:109], a[12:13], v[68:71]// 000000008574: D3E10044 1D12196C
	v_mfma_f32_16x16x16_bf16 v[68:71], a[110:111], a[14:15], v[68:71]// 00000000857C: D3E10044 1D121D6E
	ds_read_b128 v[132:135], v18 offset:15232                  // 000000008584: D9FE3B80 84000012
	ds_write_b32 v17, v42 offset:2176                          // 00000000858C: D81A0880 00002A11
	v_mfma_f32_16x16x16_bf16 v[72:75], a[104:105], a[16:17], 0 // 000000008594: D3E10048 1A022168
	v_mfma_f32_16x16x16_bf16 v[72:75], a[106:107], a[18:19], v[72:75]// 00000000859C: D3E10048 1D22256A
	v_mfma_f32_16x16x16_bf16 v[72:75], a[108:109], a[20:21], v[72:75]// 0000000085A4: D3E10048 1D22296C
	ds_read_b128 v[136:139], v18 offset:15744                  // 0000000085AC: D9FE3D80 88000012
	ds_write_b32 v17, v43 offset:3232                          // 0000000085B4: D81A0CA0 00002B11
	v_mfma_f32_16x16x16_bf16 v[72:75], a[110:111], a[22:23], v[72:75]// 0000000085BC: D3E10048 1D222D6E
	s_cmp_lt_i32 s74, 12                                       // 0000000085C4: BF048C4A
	s_cbranch_scc0 label_1259                                  // 0000000085C8: BF8400E6
	s_mov_b32 s60, 0xffe0fffe                                  // 0000000085CC: BEBC00FF FFE0FFFE
	s_mov_b32 s61, 0xe000fe00                                  // 0000000085D4: BEBD00FF E000FE00
	s_nop 0                                                    // 0000000085DC: BF800000
	s_add_u32 s62, 0, s47                                      // 0000000085E0: 803E2F80
	s_cmp_lt_i32 s74, s62                                      // 0000000085E4: BF043E4A
	s_cbranch_scc1 label_11A3                                  // 0000000085E8: BF850028
	s_cmp_eq_i32 s74, s62                                      // 0000000085EC: BF003E4A
	s_cbranch_scc1 label_1188                                  // 0000000085F0: BF85000B
	s_add_u32 s62, 4, s47                                      // 0000000085F4: 803E2F84
	s_cmp_lt_i32 s74, s62                                      // 0000000085F8: BF043E4A
	s_cbranch_scc1 label_11C3                                  // 0000000085FC: BF850043
	s_cmp_eq_i32 s74, s62                                      // 000000008600: BF003E4A
	s_cbranch_scc1 label_11A8                                  // 000000008604: BF850026
	s_add_u32 s62, 8, s47                                      // 000000008608: 803E2F88
	s_cmp_lt_i32 s74, s62                                      // 00000000860C: BF043E4A
	s_cbranch_scc1 label_11E3                                  // 000000008610: BF85005E
	s_cmp_eq_i32 s74, s62                                      // 000000008614: BF003E4A
	s_cbranch_scc1 label_11C8                                  // 000000008618: BF850041
	s_branch label_11E8                                        // 00000000861C: BF820060

0000000000008620 <label_1188>:
	v_cndmask_b32_e64 v52, v52, v178, s[60:61]                 // 000000008620: D1000034 00F36534
	s_lshl_b32 s60, s60, 1                                     // 000000008628: 8E3C813C
	s_lshl_b32 s61, s61, 1                                     // 00000000862C: 8E3D813D
	s_and_b32 s60, 0xfffeffff, s60                             // 000000008630: 863C3CFF FFFEFFFF
	s_and_b32 s61, 0xfffeffff, s61                             // 000000008638: 863D3DFF FFFEFFFF
	v_cndmask_b32_e64 v53, v53, v178, s[60:61]                 // 000000008640: D1000035 00F36535
	s_lshl_b32 s60, s60, 1                                     // 000000008648: 8E3C813C
	s_lshl_b32 s61, s61, 1                                     // 00000000864C: 8E3D813D
	s_and_b32 s60, 0xfffeffff, s60                             // 000000008650: 863C3CFF FFFEFFFF
	s_and_b32 s61, 0xfffeffff, s61                             // 000000008658: 863D3DFF FFFEFFFF
	v_cndmask_b32_e64 v54, v54, v178, s[60:61]                 // 000000008660: D1000036 00F36536
	s_lshl_b32 s60, s60, 1                                     // 000000008668: 8E3C813C
	s_lshl_b32 s61, s61, 1                                     // 00000000866C: 8E3D813D
	s_and_b32 s60, 0xfffeffff, s60                             // 000000008670: 863C3CFF FFFEFFFF
	s_and_b32 s61, 0xfffeffff, s61                             // 000000008678: 863D3DFF FFFEFFFF
	v_cndmask_b32_e64 v55, v55, v178, s[60:61]                 // 000000008680: D1000037 00F36537
	s_branch label_11C3                                        // 000000008688: BF820020

000000000000868c <label_11A3>:
	v_mov_b32_e32 v52, v178                                    // 00000000868C: 7E6803B2
	v_mov_b32_e32 v53, v178                                    // 000000008690: 7E6A03B2
	v_mov_b32_e32 v54, v178                                    // 000000008694: 7E6C03B2
	v_mov_b32_e32 v55, v178                                    // 000000008698: 7E6E03B2
	s_branch label_11C3                                        // 00000000869C: BF82001B

00000000000086a0 <label_11A8>:
	v_cndmask_b32_e64 v56, v56, v178, s[60:61]                 // 0000000086A0: D1000038 00F36538
	s_lshl_b32 s60, s60, 1                                     // 0000000086A8: 8E3C813C
	s_lshl_b32 s61, s61, 1                                     // 0000000086AC: 8E3D813D
	s_and_b32 s60, 0xfffeffff, s60                             // 0000000086B0: 863C3CFF FFFEFFFF
	s_and_b32 s61, 0xfffeffff, s61                             // 0000000086B8: 863D3DFF FFFEFFFF
	v_cndmask_b32_e64 v57, v57, v178, s[60:61]                 // 0000000086C0: D1000039 00F36539
	s_lshl_b32 s60, s60, 1                                     // 0000000086C8: 8E3C813C
	s_lshl_b32 s61, s61, 1                                     // 0000000086CC: 8E3D813D
	s_and_b32 s60, 0xfffeffff, s60                             // 0000000086D0: 863C3CFF FFFEFFFF
	s_and_b32 s61, 0xfffeffff, s61                             // 0000000086D8: 863D3DFF FFFEFFFF
	v_cndmask_b32_e64 v58, v58, v178, s[60:61]                 // 0000000086E0: D100003A 00F3653A
	s_lshl_b32 s60, s60, 1                                     // 0000000086E8: 8E3C813C
	s_lshl_b32 s61, s61, 1                                     // 0000000086EC: 8E3D813D
	s_and_b32 s60, 0xfffeffff, s60                             // 0000000086F0: 863C3CFF FFFEFFFF
	s_and_b32 s61, 0xfffeffff, s61                             // 0000000086F8: 863D3DFF FFFEFFFF
	v_cndmask_b32_e64 v59, v59, v178, s[60:61]                 // 000000008700: D100003B 00F3653B
	s_branch label_11E3                                        // 000000008708: BF820020

000000000000870c <label_11C3>:
	v_mov_b32_e32 v56, v178                                    // 00000000870C: 7E7003B2
	v_mov_b32_e32 v57, v178                                    // 000000008710: 7E7203B2
	v_mov_b32_e32 v58, v178                                    // 000000008714: 7E7403B2
	v_mov_b32_e32 v59, v178                                    // 000000008718: 7E7603B2
	s_branch label_11E3                                        // 00000000871C: BF82001B

0000000000008720 <label_11C8>:
	v_cndmask_b32_e64 v60, v60, v178, s[60:61]                 // 000000008720: D100003C 00F3653C
	s_lshl_b32 s60, s60, 1                                     // 000000008728: 8E3C813C
	s_lshl_b32 s61, s61, 1                                     // 00000000872C: 8E3D813D
	s_and_b32 s60, 0xfffeffff, s60                             // 000000008730: 863C3CFF FFFEFFFF
	s_and_b32 s61, 0xfffeffff, s61                             // 000000008738: 863D3DFF FFFEFFFF
	v_cndmask_b32_e64 v61, v61, v178, s[60:61]                 // 000000008740: D100003D 00F3653D
	s_lshl_b32 s60, s60, 1                                     // 000000008748: 8E3C813C
	s_lshl_b32 s61, s61, 1                                     // 00000000874C: 8E3D813D
	s_and_b32 s60, 0xfffeffff, s60                             // 000000008750: 863C3CFF FFFEFFFF
	s_and_b32 s61, 0xfffeffff, s61                             // 000000008758: 863D3DFF FFFEFFFF
	v_cndmask_b32_e64 v62, v62, v178, s[60:61]                 // 000000008760: D100003E 00F3653E
	s_lshl_b32 s60, s60, 1                                     // 000000008768: 8E3C813C
	s_lshl_b32 s61, s61, 1                                     // 00000000876C: 8E3D813D
	s_and_b32 s60, 0xfffeffff, s60                             // 000000008770: 863C3CFF FFFEFFFF
	s_and_b32 s61, 0xfffeffff, s61                             // 000000008778: 863D3DFF FFFEFFFF
	v_cndmask_b32_e64 v63, v63, v178, s[60:61]                 // 000000008780: D100003F 00F3653F
	s_branch label_11E8                                        // 000000008788: BF820005

000000000000878c <label_11E3>:
	v_mov_b32_e32 v60, v178                                    // 00000000878C: 7E7803B2
	v_mov_b32_e32 v61, v178                                    // 000000008790: 7E7A03B2
	v_mov_b32_e32 v62, v178                                    // 000000008794: 7E7C03B2
	v_mov_b32_e32 v63, v178                                    // 000000008798: 7E7E03B2
	s_branch label_11E8                                        // 00000000879C: BF820000

00000000000087a0 <label_11E8>:
	s_addk_i32 s74, 0x1                                        // 0000000087A0: B74A0001
	s_add_u32 s62, 0, s47                                      // 0000000087A4: 803E2F80
	s_cmp_lt_i32 s74, s62                                      // 0000000087A8: BF043E4A
	s_cbranch_scc1 label_1214                                  // 0000000087AC: BF850028
	s_cmp_eq_i32 s74, s62                                      // 0000000087B0: BF003E4A
	s_cbranch_scc1 label_11F9                                  // 0000000087B4: BF85000B
	s_add_u32 s62, 4, s47                                      // 0000000087B8: 803E2F84
	s_cmp_lt_i32 s74, s62                                      // 0000000087BC: BF043E4A
	s_cbranch_scc1 label_1234                                  // 0000000087C0: BF850043
	s_cmp_eq_i32 s74, s62                                      // 0000000087C4: BF003E4A
	s_cbranch_scc1 label_1219                                  // 0000000087C8: BF850026
	s_add_u32 s62, 8, s47                                      // 0000000087CC: 803E2F88
	s_cmp_lt_i32 s74, s62                                      // 0000000087D0: BF043E4A
	s_cbranch_scc1 label_1254                                  // 0000000087D4: BF85005E
	s_cmp_eq_i32 s74, s62                                      // 0000000087D8: BF003E4A
	s_cbranch_scc1 label_1239                                  // 0000000087DC: BF850041
	s_branch label_1259                                        // 0000000087E0: BF820060

00000000000087e4 <label_11F9>:
	v_cndmask_b32_e64 v64, v64, v178, s[60:61]                 // 0000000087E4: D1000040 00F36540
	s_lshl_b32 s60, s60, 1                                     // 0000000087EC: 8E3C813C
	s_lshl_b32 s61, s61, 1                                     // 0000000087F0: 8E3D813D
	s_and_b32 s60, 0xfffeffff, s60                             // 0000000087F4: 863C3CFF FFFEFFFF
	s_and_b32 s61, 0xfffeffff, s61                             // 0000000087FC: 863D3DFF FFFEFFFF
	v_cndmask_b32_e64 v65, v65, v178, s[60:61]                 // 000000008804: D1000041 00F36541
	s_lshl_b32 s60, s60, 1                                     // 00000000880C: 8E3C813C
	s_lshl_b32 s61, s61, 1                                     // 000000008810: 8E3D813D
	s_and_b32 s60, 0xfffeffff, s60                             // 000000008814: 863C3CFF FFFEFFFF
	s_and_b32 s61, 0xfffeffff, s61                             // 00000000881C: 863D3DFF FFFEFFFF
	v_cndmask_b32_e64 v66, v66, v178, s[60:61]                 // 000000008824: D1000042 00F36542
	s_lshl_b32 s60, s60, 1                                     // 00000000882C: 8E3C813C
	s_lshl_b32 s61, s61, 1                                     // 000000008830: 8E3D813D
	s_and_b32 s60, 0xfffeffff, s60                             // 000000008834: 863C3CFF FFFEFFFF
	s_and_b32 s61, 0xfffeffff, s61                             // 00000000883C: 863D3DFF FFFEFFFF
	v_cndmask_b32_e64 v67, v67, v178, s[60:61]                 // 000000008844: D1000043 00F36543
	s_branch label_1234                                        // 00000000884C: BF820020

0000000000008850 <label_1214>:
	v_mov_b32_e32 v64, v178                                    // 000000008850: 7E8003B2
	v_mov_b32_e32 v65, v178                                    // 000000008854: 7E8203B2
	v_mov_b32_e32 v66, v178                                    // 000000008858: 7E8403B2
	v_mov_b32_e32 v67, v178                                    // 00000000885C: 7E8603B2
	s_branch label_1234                                        // 000000008860: BF82001B

0000000000008864 <label_1219>:
	v_cndmask_b32_e64 v68, v68, v178, s[60:61]                 // 000000008864: D1000044 00F36544
	s_lshl_b32 s60, s60, 1                                     // 00000000886C: 8E3C813C
	s_lshl_b32 s61, s61, 1                                     // 000000008870: 8E3D813D
	s_and_b32 s60, 0xfffeffff, s60                             // 000000008874: 863C3CFF FFFEFFFF
	s_and_b32 s61, 0xfffeffff, s61                             // 00000000887C: 863D3DFF FFFEFFFF
	v_cndmask_b32_e64 v69, v69, v178, s[60:61]                 // 000000008884: D1000045 00F36545
	s_lshl_b32 s60, s60, 1                                     // 00000000888C: 8E3C813C
	s_lshl_b32 s61, s61, 1                                     // 000000008890: 8E3D813D
	s_and_b32 s60, 0xfffeffff, s60                             // 000000008894: 863C3CFF FFFEFFFF
	s_and_b32 s61, 0xfffeffff, s61                             // 00000000889C: 863D3DFF FFFEFFFF
	v_cndmask_b32_e64 v70, v70, v178, s[60:61]                 // 0000000088A4: D1000046 00F36546
	s_lshl_b32 s60, s60, 1                                     // 0000000088AC: 8E3C813C
	s_lshl_b32 s61, s61, 1                                     // 0000000088B0: 8E3D813D
	s_and_b32 s60, 0xfffeffff, s60                             // 0000000088B4: 863C3CFF FFFEFFFF
	s_and_b32 s61, 0xfffeffff, s61                             // 0000000088BC: 863D3DFF FFFEFFFF
	v_cndmask_b32_e64 v71, v71, v178, s[60:61]                 // 0000000088C4: D1000047 00F36547
	s_branch label_1254                                        // 0000000088CC: BF820020

00000000000088d0 <label_1234>:
	v_mov_b32_e32 v68, v178                                    // 0000000088D0: 7E8803B2
	v_mov_b32_e32 v69, v178                                    // 0000000088D4: 7E8A03B2
	v_mov_b32_e32 v70, v178                                    // 0000000088D8: 7E8C03B2
	v_mov_b32_e32 v71, v178                                    // 0000000088DC: 7E8E03B2
	s_branch label_1254                                        // 0000000088E0: BF82001B

00000000000088e4 <label_1239>:
	v_cndmask_b32_e64 v72, v72, v178, s[60:61]                 // 0000000088E4: D1000048 00F36548
	s_lshl_b32 s60, s60, 1                                     // 0000000088EC: 8E3C813C
	s_lshl_b32 s61, s61, 1                                     // 0000000088F0: 8E3D813D
	s_and_b32 s60, 0xfffeffff, s60                             // 0000000088F4: 863C3CFF FFFEFFFF
	s_and_b32 s61, 0xfffeffff, s61                             // 0000000088FC: 863D3DFF FFFEFFFF
	v_cndmask_b32_e64 v73, v73, v178, s[60:61]                 // 000000008904: D1000049 00F36549
	s_lshl_b32 s60, s60, 1                                     // 00000000890C: 8E3C813C
	s_lshl_b32 s61, s61, 1                                     // 000000008910: 8E3D813D
	s_and_b32 s60, 0xfffeffff, s60                             // 000000008914: 863C3CFF FFFEFFFF
	s_and_b32 s61, 0xfffeffff, s61                             // 00000000891C: 863D3DFF FFFEFFFF
	v_cndmask_b32_e64 v74, v74, v178, s[60:61]                 // 000000008924: D100004A 00F3654A
	s_lshl_b32 s60, s60, 1                                     // 00000000892C: 8E3C813C
	s_lshl_b32 s61, s61, 1                                     // 000000008930: 8E3D813D
	s_and_b32 s60, 0xfffeffff, s60                             // 000000008934: 863C3CFF FFFEFFFF
	s_and_b32 s61, 0xfffeffff, s61                             // 00000000893C: 863D3DFF FFFEFFFF
	v_cndmask_b32_e64 v75, v75, v178, s[60:61]                 // 000000008944: D100004B 00F3654B
	s_branch label_1259                                        // 00000000894C: BF820005

0000000000008950 <label_1254>:
	v_mov_b32_e32 v72, v178                                    // 000000008950: 7E9003B2
	v_mov_b32_e32 v73, v178                                    // 000000008954: 7E9203B2
	v_mov_b32_e32 v74, v178                                    // 000000008958: 7E9403B2
	v_mov_b32_e32 v75, v178                                    // 00000000895C: 7E9603B2
	s_branch label_1259                                        // 000000008960: BF820000

0000000000008964 <label_1259>:
	s_addk_i32 s74, 0x1                                        // 000000008964: B74A0001
	s_waitcnt lgkmcnt(8)                                       // 000000008968: BF8CC87F
	s_barrier                                                  // 00000000896C: BF8A0000
	v_mfma_f32_16x16x16_bf16 v[76:79], v[108:109], a[72:73], 0 // 000000008970: D3E1004C 1202916C
	v_fma_f32 v52, v52, s57, -v140                             // 000000008978: D1CB0034 86307334
	v_fma_f32 v53, v53, s57, -v141                             // 000000008980: D1CB0035 86347335
	v_fma_f32 v54, v54, s57, -v142                             // 000000008988: D1CB0036 86387336
	v_fma_f32 v55, v55, s57, -v143                             // 000000008990: D1CB0037 863C7337
	v_fma_f32 v56, v56, s57, -v140                             // 000000008998: D1CB0038 86307338
	v_fma_f32 v57, v57, s57, -v141                             // 0000000089A0: D1CB0039 86347339
	v_mfma_f32_16x16x16_bf16 v[76:79], v[110:111], a[74:75], v[76:79]// 0000000089A8: D3E1004C 1532956E
	ds_read_b128 a[96:99], v18 offset:4352                     // 0000000089B0: DBFE1100 60000012
	ds_read_b128 a[100:103], v18 offset:4864                   // 0000000089B8: DBFE1300 64000012
	v_mfma_f32_16x16x16_bf16 v[76:79], v[112:113], a[76:77], v[76:79]// 0000000089C0: D3E1004C 15329970
	v_fma_f32 v58, v58, s57, -v142                             // 0000000089C8: D1CB003A 8638733A
	v_fma_f32 v59, v59, s57, -v143                             // 0000000089D0: D1CB003B 863C733B
	v_fma_f32 v60, v60, s57, -v140                             // 0000000089D8: D1CB003C 8630733C
	v_fma_f32 v61, v61, s57, -v141                             // 0000000089E0: D1CB003D 8634733D
	v_fma_f32 v62, v62, s57, -v142                             // 0000000089E8: D1CB003E 8638733E
	v_fma_f32 v63, v63, s57, -v143                             // 0000000089F0: D1CB003F 863C733F
	v_mfma_f32_16x16x16_bf16 v[76:79], v[114:115], a[78:79], v[76:79]// 0000000089F8: D3E1004C 15329D72
	v_fma_f32 v64, v64, s57, -v144                             // 000000008A00: D1CB0040 86407340
	v_fma_f32 v65, v65, s57, -v145                             // 000000008A08: D1CB0041 86447341
	v_fma_f32 v66, v66, s57, -v146                             // 000000008A10: D1CB0042 86487342
	v_fma_f32 v67, v67, s57, -v147                             // 000000008A18: D1CB0043 864C7343
	v_fma_f32 v68, v68, s57, -v144                             // 000000008A20: D1CB0044 86407344
	v_fma_f32 v69, v69, s57, -v145                             // 000000008A28: D1CB0045 86447345
	v_mfma_f32_16x16x16_bf16 v[80:83], v[108:109], a[80:81], 0 // 000000008A30: D3E10050 1202A16C
	v_fma_f32 v70, v70, s57, -v146                             // 000000008A38: D1CB0046 86487346
	v_fma_f32 v71, v71, s57, -v147                             // 000000008A40: D1CB0047 864C7347
	v_fma_f32 v72, v72, s57, -v144                             // 000000008A48: D1CB0048 86407348
	v_fma_f32 v73, v73, s57, -v145                             // 000000008A50: D1CB0049 86447349
	v_fma_f32 v74, v74, s57, -v146                             // 000000008A58: D1CB004A 8648734A
	v_fma_f32 v75, v75, s57, -v147                             // 000000008A60: D1CB004B 864C734B
	v_mfma_f32_16x16x16_bf16 v[80:83], v[110:111], a[82:83], v[80:83]// 000000008A68: D3E10050 1542A56E
	ds_read_b128 a[104:107], v18 offset:6528                   // 000000008A70: DBFE1980 68000012
	ds_read_b128 a[108:111], v18 offset:7040                   // 000000008A78: DBFE1B80 6C000012
	v_mfma_f32_16x16x16_bf16 v[80:83], v[112:113], a[84:85], v[80:83]// 000000008A80: D3E10050 1542A970
	v_exp_f32_e32 v52, v52                                     // 000000008A88: 7E684134
	v_exp_f32_e32 v53, v53                                     // 000000008A8C: 7E6A4135
	v_mfma_f32_16x16x16_bf16 v[80:83], v[114:115], a[86:87], v[80:83]// 000000008A90: D3E10050 1542AD72
	v_exp_f32_e32 v54, v54                                     // 000000008A98: 7E6C4136
	v_exp_f32_e32 v55, v55                                     // 000000008A9C: 7E6E4137
	v_mfma_f32_16x16x16_bf16 v[84:87], v[108:109], a[88:89], 0 // 000000008AA0: D3E10054 1202B16C
	v_exp_f32_e32 v56, v56                                     // 000000008AA8: 7E704138
	v_exp_f32_e32 v57, v57                                     // 000000008AAC: 7E724139
	v_mfma_f32_16x16x16_bf16 v[84:87], v[110:111], a[90:91], v[84:87]// 000000008AB0: D3E10054 1552B56E
	ds_read_b32 v156, v25 offset:31232                         // 000000008AB8: D86C7A00 9C000019
	ds_read_b32 v157, v25 offset:31248                         // 000000008AC0: D86C7A10 9D000019
	v_mfma_f32_16x16x16_bf16 v[84:87], v[112:113], a[92:93], v[84:87]// 000000008AC8: D3E10054 1552B970
	v_exp_f32_e32 v58, v58                                     // 000000008AD0: 7E74413A
	v_exp_f32_e32 v59, v59                                     // 000000008AD4: 7E76413B
	v_mfma_f32_16x16x16_bf16 v[84:87], v[114:115], a[94:95], v[84:87]// 000000008AD8: D3E10054 1552BD72
	ds_read_b32 v158, v25 offset:31264                         // 000000008AE0: D86C7A20 9E000019
	ds_read_b32 v159, v25 offset:31280                         // 000000008AE8: D86C7A30 9F000019
	v_mfma_f32_16x16x16_bf16 v[88:91], v[116:117], a[72:73], 0 // 000000008AF0: D3E10058 12029174
	v_exp_f32_e32 v60, v60                                     // 000000008AF8: 7E78413C
	v_exp_f32_e32 v61, v61                                     // 000000008AFC: 7E7A413D
	v_mfma_f32_16x16x16_bf16 v[88:91], v[118:119], a[74:75], v[88:91]// 000000008B00: D3E10058 15629576
	v_exp_f32_e32 v62, v62                                     // 000000008B08: 7E7C413E
	v_exp_f32_e32 v63, v63                                     // 000000008B0C: 7E7E413F
	v_mfma_f32_16x16x16_bf16 v[88:91], v[120:121], a[76:77], v[88:91]// 000000008B10: D3E10058 15629978
	v_exp_f32_e32 v64, v64                                     // 000000008B18: 7E804140
	v_exp_f32_e32 v65, v65                                     // 000000008B1C: 7E824141
	v_mfma_f32_16x16x16_bf16 v[88:91], v[122:123], a[78:79], v[88:91]// 000000008B20: D3E10058 15629D7A
	v_exp_f32_e32 v66, v66                                     // 000000008B28: 7E844142
	v_exp_f32_e32 v67, v67                                     // 000000008B2C: 7E864143
	v_mfma_f32_16x16x16_bf16 v[92:95], v[116:117], a[80:81], 0 // 000000008B30: D3E1005C 1202A174
	v_exp_f32_e32 v68, v68                                     // 000000008B38: 7E884144
	v_exp_f32_e32 v69, v69                                     // 000000008B3C: 7E8A4145
	v_mfma_f32_16x16x16_bf16 v[92:95], v[118:119], a[82:83], v[92:95]// 000000008B40: D3E1005C 1572A576
	v_exp_f32_e32 v70, v70                                     // 000000008B48: 7E8C4146
	v_exp_f32_e32 v71, v71                                     // 000000008B4C: 7E8E4147
	v_mfma_f32_16x16x16_bf16 v[92:95], v[120:121], a[84:85], v[92:95]// 000000008B50: D3E1005C 1572A978
	v_exp_f32_e32 v72, v72                                     // 000000008B58: 7E904148
	v_exp_f32_e32 v73, v73                                     // 000000008B5C: 7E924149
	v_mfma_f32_16x16x16_bf16 v[92:95], v[122:123], a[86:87], v[92:95]// 000000008B60: D3E1005C 1572AD7A
	v_exp_f32_e32 v74, v74                                     // 000000008B68: 7E94414A
	v_exp_f32_e32 v75, v75                                     // 000000008B6C: 7E96414B
	v_mfma_f32_16x16x16_bf16 v[96:99], v[116:117], a[88:89], 0 // 000000008B70: D3E10060 1202B174
	v_cmp_u_f32_e64 s[78:79], v52, v52                         // 000000008B78: D048004E 00026934
	v_bfe_u32 v228, v52, 16, 1                                 // 000000008B80: D1C800E4 02052134
	v_add3_u32 v228, v52, v228, v231                           // 000000008B88: D1FF00E4 079FC934
	v_cndmask_b32_e64 v32, v228, v230, s[78:79]                // 000000008B90: D1000020 013BCDE4
	v_lshrrev_b32_e32 v32, 16, v32                             // 000000008B98: 20404090
	v_cmp_u_f32_e64 s[78:79], v53, v53                         // 000000008B9C: D048004E 00026B35
	v_bfe_u32 v228, v53, 16, 1                                 // 000000008BA4: D1C800E4 02052135
	v_add3_u32 v228, v53, v228, v231                           // 000000008BAC: D1FF00E4 079FC935
	v_cndmask_b32_e64 v33, v228, v230, s[78:79]                // 000000008BB4: D1000021 013BCDE4
	v_and_or_b32 v164, v33, v229, v32                          // 000000008BBC: D20100A4 0483CB21
	v_cmp_u_f32_e64 s[78:79], v54, v54                         // 000000008BC4: D048004E 00026D36
	v_bfe_u32 v228, v54, 16, 1                                 // 000000008BCC: D1C800E4 02052136
	v_add3_u32 v228, v54, v228, v231                           // 000000008BD4: D1FF00E4 079FC936
	v_cndmask_b32_e64 v32, v228, v230, s[78:79]                // 000000008BDC: D1000020 013BCDE4
	v_lshrrev_b32_e32 v32, 16, v32                             // 000000008BE4: 20404090
	v_cmp_u_f32_e64 s[78:79], v55, v55                         // 000000008BE8: D048004E 00026F37
	v_bfe_u32 v228, v55, 16, 1                                 // 000000008BF0: D1C800E4 02052137
	v_add3_u32 v228, v55, v228, v231                           // 000000008BF8: D1FF00E4 079FC937
	v_cndmask_b32_e64 v33, v228, v230, s[78:79]                // 000000008C00: D1000021 013BCDE4
	v_and_or_b32 v165, v33, v229, v32                          // 000000008C08: D20100A5 0483CB21
	v_cmp_u_f32_e64 s[78:79], v56, v56                         // 000000008C10: D048004E 00027138
	v_bfe_u32 v228, v56, 16, 1                                 // 000000008C18: D1C800E4 02052138
	v_add3_u32 v228, v56, v228, v231                           // 000000008C20: D1FF00E4 079FC938
	v_cndmask_b32_e64 v32, v228, v230, s[78:79]                // 000000008C28: D1000020 013BCDE4
	v_lshrrev_b32_e32 v32, 16, v32                             // 000000008C30: 20404090
	v_cmp_u_f32_e64 s[78:79], v57, v57                         // 000000008C34: D048004E 00027339
	v_bfe_u32 v228, v57, 16, 1                                 // 000000008C3C: D1C800E4 02052139
	v_add3_u32 v228, v57, v228, v231                           // 000000008C44: D1FF00E4 079FC939
	v_cndmask_b32_e64 v33, v228, v230, s[78:79]                // 000000008C4C: D1000021 013BCDE4
	v_and_or_b32 v166, v33, v229, v32                          // 000000008C54: D20100A6 0483CB21
	v_cmp_u_f32_e64 s[78:79], v58, v58                         // 000000008C5C: D048004E 0002753A
	v_bfe_u32 v228, v58, 16, 1                                 // 000000008C64: D1C800E4 0205213A
	v_add3_u32 v228, v58, v228, v231                           // 000000008C6C: D1FF00E4 079FC93A
	v_cndmask_b32_e64 v32, v228, v230, s[78:79]                // 000000008C74: D1000020 013BCDE4
	v_lshrrev_b32_e32 v32, 16, v32                             // 000000008C7C: 20404090
	v_cmp_u_f32_e64 s[78:79], v59, v59                         // 000000008C80: D048004E 0002773B
	v_bfe_u32 v228, v59, 16, 1                                 // 000000008C88: D1C800E4 0205213B
	v_add3_u32 v228, v59, v228, v231                           // 000000008C90: D1FF00E4 079FC93B
	v_cndmask_b32_e64 v33, v228, v230, s[78:79]                // 000000008C98: D1000021 013BCDE4
	v_and_or_b32 v167, v33, v229, v32                          // 000000008CA0: D20100A7 0483CB21
	v_cmp_u_f32_e64 s[78:79], v60, v60                         // 000000008CA8: D048004E 0002793C
	v_bfe_u32 v228, v60, 16, 1                                 // 000000008CB0: D1C800E4 0205213C
	v_add3_u32 v228, v60, v228, v231                           // 000000008CB8: D1FF00E4 079FC93C
	v_cndmask_b32_e64 v32, v228, v230, s[78:79]                // 000000008CC0: D1000020 013BCDE4
	v_lshrrev_b32_e32 v32, 16, v32                             // 000000008CC8: 20404090
	v_cmp_u_f32_e64 s[78:79], v61, v61                         // 000000008CCC: D048004E 00027B3D
	v_bfe_u32 v228, v61, 16, 1                                 // 000000008CD4: D1C800E4 0205213D
	v_add3_u32 v228, v61, v228, v231                           // 000000008CDC: D1FF00E4 079FC93D
	v_cndmask_b32_e64 v33, v228, v230, s[78:79]                // 000000008CE4: D1000021 013BCDE4
	v_and_or_b32 v168, v33, v229, v32                          // 000000008CEC: D20100A8 0483CB21
	v_cmp_u_f32_e64 s[78:79], v62, v62                         // 000000008CF4: D048004E 00027D3E
	v_bfe_u32 v228, v62, 16, 1                                 // 000000008CFC: D1C800E4 0205213E
	v_add3_u32 v228, v62, v228, v231                           // 000000008D04: D1FF00E4 079FC93E
	v_cndmask_b32_e64 v32, v228, v230, s[78:79]                // 000000008D0C: D1000020 013BCDE4
	v_lshrrev_b32_e32 v32, 16, v32                             // 000000008D14: 20404090
	v_cmp_u_f32_e64 s[78:79], v63, v63                         // 000000008D18: D048004E 00027F3F
	v_bfe_u32 v228, v63, 16, 1                                 // 000000008D20: D1C800E4 0205213F
	v_add3_u32 v228, v63, v228, v231                           // 000000008D28: D1FF00E4 079FC93F
	v_cndmask_b32_e64 v33, v228, v230, s[78:79]                // 000000008D30: D1000021 013BCDE4
	v_and_or_b32 v169, v33, v229, v32                          // 000000008D38: D20100A9 0483CB21
	v_mfma_f32_16x16x16_bf16 v[96:99], v[118:119], a[90:91], v[96:99]// 000000008D40: D3E10060 1582B576
	v_cmp_u_f32_e64 s[78:79], v64, v64                         // 000000008D48: D048004E 00028140
	v_bfe_u32 v228, v64, 16, 1                                 // 000000008D50: D1C800E4 02052140
	v_add3_u32 v228, v64, v228, v231                           // 000000008D58: D1FF00E4 079FC940
	v_cndmask_b32_e64 v32, v228, v230, s[78:79]                // 000000008D60: D1000020 013BCDE4
	v_lshrrev_b32_e32 v32, 16, v32                             // 000000008D68: 20404090
	v_cmp_u_f32_e64 s[78:79], v65, v65                         // 000000008D6C: D048004E 00028341
	v_bfe_u32 v228, v65, 16, 1                                 // 000000008D74: D1C800E4 02052141
	v_add3_u32 v228, v65, v228, v231                           // 000000008D7C: D1FF00E4 079FC941
	v_cndmask_b32_e64 v33, v228, v230, s[78:79]                // 000000008D84: D1000021 013BCDE4
	v_and_or_b32 v170, v33, v229, v32                          // 000000008D8C: D20100AA 0483CB21
	v_cmp_u_f32_e64 s[78:79], v66, v66                         // 000000008D94: D048004E 00028542
	v_bfe_u32 v228, v66, 16, 1                                 // 000000008D9C: D1C800E4 02052142
	v_add3_u32 v228, v66, v228, v231                           // 000000008DA4: D1FF00E4 079FC942
	v_cndmask_b32_e64 v32, v228, v230, s[78:79]                // 000000008DAC: D1000020 013BCDE4
	v_lshrrev_b32_e32 v32, 16, v32                             // 000000008DB4: 20404090
	v_cmp_u_f32_e64 s[78:79], v67, v67                         // 000000008DB8: D048004E 00028743
	v_bfe_u32 v228, v67, 16, 1                                 // 000000008DC0: D1C800E4 02052143
	v_add3_u32 v228, v67, v228, v231                           // 000000008DC8: D1FF00E4 079FC943
	v_cndmask_b32_e64 v33, v228, v230, s[78:79]                // 000000008DD0: D1000021 013BCDE4
	v_and_or_b32 v171, v33, v229, v32                          // 000000008DD8: D20100AB 0483CB21
	v_cmp_u_f32_e64 s[78:79], v68, v68                         // 000000008DE0: D048004E 00028944
	v_bfe_u32 v228, v68, 16, 1                                 // 000000008DE8: D1C800E4 02052144
	v_add3_u32 v228, v68, v228, v231                           // 000000008DF0: D1FF00E4 079FC944
	v_cndmask_b32_e64 v32, v228, v230, s[78:79]                // 000000008DF8: D1000020 013BCDE4
	v_lshrrev_b32_e32 v32, 16, v32                             // 000000008E00: 20404090
	v_cmp_u_f32_e64 s[78:79], v69, v69                         // 000000008E04: D048004E 00028B45
	v_bfe_u32 v228, v69, 16, 1                                 // 000000008E0C: D1C800E4 02052145
	v_add3_u32 v228, v69, v228, v231                           // 000000008E14: D1FF00E4 079FC945
	v_cndmask_b32_e64 v33, v228, v230, s[78:79]                // 000000008E1C: D1000021 013BCDE4
	v_and_or_b32 v172, v33, v229, v32                          // 000000008E24: D20100AC 0483CB21
	v_cmp_u_f32_e64 s[78:79], v70, v70                         // 000000008E2C: D048004E 00028D46
	v_bfe_u32 v228, v70, 16, 1                                 // 000000008E34: D1C800E4 02052146
	v_add3_u32 v228, v70, v228, v231                           // 000000008E3C: D1FF00E4 079FC946
	v_cndmask_b32_e64 v32, v228, v230, s[78:79]                // 000000008E44: D1000020 013BCDE4
	v_lshrrev_b32_e32 v32, 16, v32                             // 000000008E4C: 20404090
	v_cmp_u_f32_e64 s[78:79], v71, v71                         // 000000008E50: D048004E 00028F47
	v_bfe_u32 v228, v71, 16, 1                                 // 000000008E58: D1C800E4 02052147
	v_add3_u32 v228, v71, v228, v231                           // 000000008E60: D1FF00E4 079FC947
	v_cndmask_b32_e64 v33, v228, v230, s[78:79]                // 000000008E68: D1000021 013BCDE4
	v_and_or_b32 v173, v33, v229, v32                          // 000000008E70: D20100AD 0483CB21
	v_cmp_u_f32_e64 s[78:79], v72, v72                         // 000000008E78: D048004E 00029148
	v_bfe_u32 v228, v72, 16, 1                                 // 000000008E80: D1C800E4 02052148
	v_add3_u32 v228, v72, v228, v231                           // 000000008E88: D1FF00E4 079FC948
	v_cndmask_b32_e64 v32, v228, v230, s[78:79]                // 000000008E90: D1000020 013BCDE4
	v_lshrrev_b32_e32 v32, 16, v32                             // 000000008E98: 20404090
	v_cmp_u_f32_e64 s[78:79], v73, v73                         // 000000008E9C: D048004E 00029349
	v_bfe_u32 v228, v73, 16, 1                                 // 000000008EA4: D1C800E4 02052149
	v_add3_u32 v228, v73, v228, v231                           // 000000008EAC: D1FF00E4 079FC949
	v_cndmask_b32_e64 v33, v228, v230, s[78:79]                // 000000008EB4: D1000021 013BCDE4
	v_and_or_b32 v174, v33, v229, v32                          // 000000008EBC: D20100AE 0483CB21
	v_cmp_u_f32_e64 s[78:79], v74, v74                         // 000000008EC4: D048004E 0002954A
	v_bfe_u32 v228, v74, 16, 1                                 // 000000008ECC: D1C800E4 0205214A
	v_add3_u32 v228, v74, v228, v231                           // 000000008ED4: D1FF00E4 079FC94A
	v_cndmask_b32_e64 v32, v228, v230, s[78:79]                // 000000008EDC: D1000020 013BCDE4
	v_lshrrev_b32_e32 v32, 16, v32                             // 000000008EE4: 20404090
	v_cmp_u_f32_e64 s[78:79], v75, v75                         // 000000008EE8: D048004E 0002974B
	v_bfe_u32 v228, v75, 16, 1                                 // 000000008EF0: D1C800E4 0205214B
	v_add3_u32 v228, v75, v228, v231                           // 000000008EF8: D1FF00E4 079FC94B
	v_cndmask_b32_e64 v33, v228, v230, s[78:79]                // 000000008F00: D1000021 013BCDE4
	v_and_or_b32 v175, v33, v229, v32                          // 000000008F08: D20100AF 0483CB21
	v_mfma_f32_16x16x16_bf16 v[96:99], v[120:121], a[92:93], v[96:99]// 000000008F10: D3E10060 1582B978
	s_add_u32 s32, s66, s32                                    // 000000008F18: 80202042
	s_addc_u32 s33, 0, s33                                     // 000000008F1C: 82212180
	v_mfma_f32_16x16x16_bf16 v[96:99], v[122:123], a[94:95], v[96:99]// 000000008F20: D3E10060 1582BD7A
	s_waitcnt lgkmcnt(0)                                       // 000000008F28: BF8CC07F
	s_barrier                                                  // 000000008F2C: BF8A0000
	v_mfma_f32_16x16x16_bf16 v[180:183], v[124:125], v[164:165], v[180:183]// 000000008F30: D3E100B4 06D3497C
	v_subrev_f32_dpp v76, v176, v76 quad_perm:[0,0,0,0] row_mask:0xf bank_mask:0xf// 000000008F38: 069898FA FF0000B0
	v_subrev_f32_dpp v77, v176, v77 quad_perm:[1,1,1,1] row_mask:0xf bank_mask:0xf// 000000008F40: 069A9AFA FF0055B0
	v_subrev_f32_dpp v78, v176, v78 quad_perm:[2,2,2,2] row_mask:0xf bank_mask:0xf// 000000008F48: 069C9CFA FF00AAB0
	v_subrev_f32_dpp v79, v176, v79 quad_perm:[3,3,3,3] row_mask:0xf bank_mask:0xf// 000000008F50: 069E9EFA FF00FFB0
	v_subrev_f32_dpp v80, v176, v80 quad_perm:[0,0,0,0] row_mask:0xf bank_mask:0xf// 000000008F58: 06A0A0FA FF0000B0
	v_subrev_f32_dpp v81, v176, v81 quad_perm:[1,1,1,1] row_mask:0xf bank_mask:0xf// 000000008F60: 06A2A2FA FF0055B0
	v_mfma_f32_16x16x16_bf16 v[184:187], v[126:127], v[164:165], v[184:187]// 000000008F68: D3E100B8 06E3497E
	v_subrev_f32_dpp v82, v176, v82 quad_perm:[2,2,2,2] row_mask:0xf bank_mask:0xf// 000000008F70: 06A4A4FA FF00AAB0
	v_subrev_f32_dpp v83, v176, v83 quad_perm:[3,3,3,3] row_mask:0xf bank_mask:0xf// 000000008F78: 06A6A6FA FF00FFB0
	v_subrev_f32_dpp v84, v176, v84 quad_perm:[0,0,0,0] row_mask:0xf bank_mask:0xf// 000000008F80: 06A8A8FA FF0000B0
	v_subrev_f32_dpp v85, v176, v85 quad_perm:[1,1,1,1] row_mask:0xf bank_mask:0xf// 000000008F88: 06AAAAFA FF0055B0
	v_subrev_f32_dpp v86, v176, v86 quad_perm:[2,2,2,2] row_mask:0xf bank_mask:0xf// 000000008F90: 06ACACFA FF00AAB0
	v_subrev_f32_dpp v87, v176, v87 quad_perm:[3,3,3,3] row_mask:0xf bank_mask:0xf// 000000008F98: 06AEAEFA FF00FFB0
	v_mfma_f32_16x16x16_bf16 v[188:191], v[128:129], v[164:165], v[188:191]// 000000008FA0: D3E100BC 06F34980
	v_mul_f32_e32 v76, v52, v76                                // 000000008FA8: 0A989934
	v_mul_f32_e32 v77, v53, v77                                // 000000008FAC: 0A9A9B35
	v_mul_f32_e32 v78, v54, v78                                // 000000008FB0: 0A9C9D36
	v_mul_f32_e32 v79, v55, v79                                // 000000008FB4: 0A9E9F37
	v_mul_f32_e32 v80, v56, v80                                // 000000008FB8: 0AA0A138
	v_mul_f32_e32 v81, v57, v81                                // 000000008FBC: 0AA2A339
	v_mfma_f32_16x16x16_bf16 v[192:195], v[130:131], v[164:165], v[192:195]// 000000008FC0: D3E100C0 07034982
	v_mul_f32_e32 v82, v58, v82                                // 000000008FC8: 0AA4A53A
	v_mul_f32_e32 v83, v59, v83                                // 000000008FCC: 0AA6A73B
	v_mul_f32_e32 v84, v60, v84                                // 000000008FD0: 0AA8A93C
	v_mul_f32_e32 v85, v61, v85                                // 000000008FD4: 0AAAAB3D
	v_mul_f32_e32 v86, v62, v86                                // 000000008FD8: 0AACAD3E
	v_mul_f32_e32 v87, v63, v87                                // 000000008FDC: 0AAEAF3F
	v_mfma_f32_16x16x16_bf16 v[196:199], v[124:125], v[166:167], v[196:199]// 000000008FE0: D3E100C4 07134D7C
	v_cmp_u_f32_e64 s[78:79], v76, v76                         // 000000008FE8: D048004E 0002994C
	v_bfe_u32 v228, v76, 16, 1                                 // 000000008FF0: D1C800E4 0205214C
	v_add3_u32 v228, v76, v228, v231                           // 000000008FF8: D1FF00E4 079FC94C
	v_cndmask_b32_e64 v32, v228, v230, s[78:79]                // 000000009000: D1000020 013BCDE4
	v_lshrrev_b32_e32 v32, 16, v32                             // 000000009008: 20404090
	v_cmp_u_f32_e64 s[78:79], v77, v77                         // 00000000900C: D048004E 00029B4D
	v_bfe_u32 v228, v77, 16, 1                                 // 000000009014: D1C800E4 0205214D
	v_add3_u32 v228, v77, v228, v231                           // 00000000901C: D1FF00E4 079FC94D
	v_cndmask_b32_e64 v33, v228, v230, s[78:79]                // 000000009024: D1000021 013BCDE4
	v_and_or_b32 v76, v33, v229, v32                           // 00000000902C: D201004C 0483CB21
	v_cmp_u_f32_e64 s[78:79], v78, v78                         // 000000009034: D048004E 00029D4E
	v_bfe_u32 v228, v78, 16, 1                                 // 00000000903C: D1C800E4 0205214E
	v_add3_u32 v228, v78, v228, v231                           // 000000009044: D1FF00E4 079FC94E
	v_cndmask_b32_e64 v32, v228, v230, s[78:79]                // 00000000904C: D1000020 013BCDE4
	v_lshrrev_b32_e32 v32, 16, v32                             // 000000009054: 20404090
	v_cmp_u_f32_e64 s[78:79], v79, v79                         // 000000009058: D048004E 00029F4F
	v_bfe_u32 v228, v79, 16, 1                                 // 000000009060: D1C800E4 0205214F
	v_add3_u32 v228, v79, v228, v231                           // 000000009068: D1FF00E4 079FC94F
	v_cndmask_b32_e64 v33, v228, v230, s[78:79]                // 000000009070: D1000021 013BCDE4
	v_and_or_b32 v77, v33, v229, v32                           // 000000009078: D201004D 0483CB21
	v_cmp_u_f32_e64 s[78:79], v80, v80                         // 000000009080: D048004E 0002A150
	v_bfe_u32 v228, v80, 16, 1                                 // 000000009088: D1C800E4 02052150
	v_add3_u32 v228, v80, v228, v231                           // 000000009090: D1FF00E4 079FC950
	v_cndmask_b32_e64 v32, v228, v230, s[78:79]                // 000000009098: D1000020 013BCDE4
	v_lshrrev_b32_e32 v32, 16, v32                             // 0000000090A0: 20404090
	v_cmp_u_f32_e64 s[78:79], v81, v81                         // 0000000090A4: D048004E 0002A351
	v_bfe_u32 v228, v81, 16, 1                                 // 0000000090AC: D1C800E4 02052151
	v_add3_u32 v228, v81, v228, v231                           // 0000000090B4: D1FF00E4 079FC951
	v_cndmask_b32_e64 v33, v228, v230, s[78:79]                // 0000000090BC: D1000021 013BCDE4
	v_and_or_b32 v78, v33, v229, v32                           // 0000000090C4: D201004E 0483CB21
	v_cmp_u_f32_e64 s[78:79], v82, v82                         // 0000000090CC: D048004E 0002A552
	v_bfe_u32 v228, v82, 16, 1                                 // 0000000090D4: D1C800E4 02052152
	v_add3_u32 v228, v82, v228, v231                           // 0000000090DC: D1FF00E4 079FC952
	v_cndmask_b32_e64 v32, v228, v230, s[78:79]                // 0000000090E4: D1000020 013BCDE4
	v_lshrrev_b32_e32 v32, 16, v32                             // 0000000090EC: 20404090
	v_cmp_u_f32_e64 s[78:79], v83, v83                         // 0000000090F0: D048004E 0002A753
	v_bfe_u32 v228, v83, 16, 1                                 // 0000000090F8: D1C800E4 02052153
	v_add3_u32 v228, v83, v228, v231                           // 000000009100: D1FF00E4 079FC953
	v_cndmask_b32_e64 v33, v228, v230, s[78:79]                // 000000009108: D1000021 013BCDE4
	v_and_or_b32 v79, v33, v229, v32                           // 000000009110: D201004F 0483CB21
	v_cmp_u_f32_e64 s[78:79], v84, v84                         // 000000009118: D048004E 0002A954
	v_bfe_u32 v228, v84, 16, 1                                 // 000000009120: D1C800E4 02052154
	v_add3_u32 v228, v84, v228, v231                           // 000000009128: D1FF00E4 079FC954
	v_cndmask_b32_e64 v32, v228, v230, s[78:79]                // 000000009130: D1000020 013BCDE4
	v_lshrrev_b32_e32 v32, 16, v32                             // 000000009138: 20404090
	v_cmp_u_f32_e64 s[78:79], v85, v85                         // 00000000913C: D048004E 0002AB55
	v_bfe_u32 v228, v85, 16, 1                                 // 000000009144: D1C800E4 02052155
	v_add3_u32 v228, v85, v228, v231                           // 00000000914C: D1FF00E4 079FC955
	v_cndmask_b32_e64 v33, v228, v230, s[78:79]                // 000000009154: D1000021 013BCDE4
	v_and_or_b32 v80, v33, v229, v32                           // 00000000915C: D2010050 0483CB21
	v_cmp_u_f32_e64 s[78:79], v86, v86                         // 000000009164: D048004E 0002AD56
	v_bfe_u32 v228, v86, 16, 1                                 // 00000000916C: D1C800E4 02052156
	v_add3_u32 v228, v86, v228, v231                           // 000000009174: D1FF00E4 079FC956
	v_cndmask_b32_e64 v32, v228, v230, s[78:79]                // 00000000917C: D1000020 013BCDE4
	v_lshrrev_b32_e32 v32, 16, v32                             // 000000009184: 20404090
	v_cmp_u_f32_e64 s[78:79], v87, v87                         // 000000009188: D048004E 0002AF57
	v_bfe_u32 v228, v87, 16, 1                                 // 000000009190: D1C800E4 02052157
	v_add3_u32 v228, v87, v228, v231                           // 000000009198: D1FF00E4 079FC957
	v_cndmask_b32_e64 v33, v228, v230, s[78:79]                // 0000000091A0: D1000021 013BCDE4
	v_and_or_b32 v81, v33, v229, v32                           // 0000000091A8: D2010051 0483CB21
	v_mfma_f32_16x16x16_bf16 v[200:203], v[126:127], v[166:167], v[200:203]// 0000000091B0: D3E100C8 07234D7E
	v_mov_b32_dpp v22, v76 quad_perm:[1,0,3,2] row_mask:0xf bank_mask:0xf// 0000000091B8: 7E2C02FA FF00B14C
	v_perm_b32 v52, v22, v76, v21                              // 0000000091C0: D1ED0034 04569916
	v_mov_b32_dpp v22, v77 quad_perm:[1,0,3,2] row_mask:0xf bank_mask:0xf// 0000000091C8: 7E2C02FA FF00B14D
	v_perm_b32 v53, v22, v77, v21                              // 0000000091D0: D1ED0035 04569B16
	v_mov_b32_dpp v22, v78 quad_perm:[1,0,3,2] row_mask:0xf bank_mask:0xf// 0000000091D8: 7E2C02FA FF00B14E
	v_perm_b32 v54, v22, v78, v21                              // 0000000091E0: D1ED0036 04569D16
	v_mfma_f32_16x16x16_bf16 v[204:207], v[128:129], v[166:167], v[204:207]// 0000000091E8: D3E100CC 07334D80
	ds_write_b32 v24, v52 offset:17408                         // 0000000091F0: D81A4400 00003418
	ds_write_b32 v24, v53 offset:17952                         // 0000000091F8: D81A4620 00003518
	v_mfma_f32_16x16x16_bf16 v[208:211], v[130:131], v[166:167], v[208:211]// 000000009200: D3E100D0 07434D82
	v_mov_b32_dpp v22, v79 quad_perm:[1,0,3,2] row_mask:0xf bank_mask:0xf// 000000009208: 7E2C02FA FF00B14F
	v_perm_b32 v55, v22, v79, v21                              // 000000009210: D1ED0037 04569F16
	v_mov_b32_dpp v22, v80 quad_perm:[1,0,3,2] row_mask:0xf bank_mask:0xf// 000000009218: 7E2C02FA FF00B150
	v_perm_b32 v56, v22, v80, v21                              // 000000009220: D1ED0038 0456A116
	v_mov_b32_dpp v22, v81 quad_perm:[1,0,3,2] row_mask:0xf bank_mask:0xf// 000000009228: 7E2C02FA FF00B151
	v_perm_b32 v57, v22, v81, v21                              // 000000009230: D1ED0039 0456A316
	v_mfma_f32_16x16x16_bf16 v[212:215], v[124:125], v[168:169], v[212:215]// 000000009238: D3E100D4 0753517C
	ds_write_b32 v24, v54 offset:19712                         // 000000009240: D81A4D00 00003618
	ds_write_b32 v24, v55 offset:20256                         // 000000009248: D81A4F20 00003718
	v_mfma_f32_16x16x16_bf16 v[216:219], v[126:127], v[168:169], v[216:219]// 000000009250: D3E100D8 0763517E
	v_subrev_f32_dpp v88, v177, v88 quad_perm:[0,0,0,0] row_mask:0xf bank_mask:0xf// 000000009258: 06B0B0FA FF0000B1
	v_subrev_f32_dpp v89, v177, v89 quad_perm:[1,1,1,1] row_mask:0xf bank_mask:0xf// 000000009260: 06B2B2FA FF0055B1
	v_subrev_f32_dpp v90, v177, v90 quad_perm:[2,2,2,2] row_mask:0xf bank_mask:0xf// 000000009268: 06B4B4FA FF00AAB1
	v_subrev_f32_dpp v91, v177, v91 quad_perm:[3,3,3,3] row_mask:0xf bank_mask:0xf// 000000009270: 06B6B6FA FF00FFB1
	v_subrev_f32_dpp v92, v177, v92 quad_perm:[0,0,0,0] row_mask:0xf bank_mask:0xf// 000000009278: 06B8B8FA FF0000B1
	v_subrev_f32_dpp v93, v177, v93 quad_perm:[1,1,1,1] row_mask:0xf bank_mask:0xf// 000000009280: 06BABAFA FF0055B1
	v_mfma_f32_16x16x16_bf16 v[220:223], v[128:129], v[168:169], v[220:223]// 000000009288: D3E100DC 07735180
	ds_write_b32 v24, v56 offset:22016                         // 000000009290: D81A5600 00003818
	ds_write_b32 v24, v57 offset:22560                         // 000000009298: D81A5820 00003918
	v_mfma_f32_16x16x16_bf16 v[224:227], v[130:131], v[168:169], v[224:227]// 0000000092A0: D3E100E0 07835182
	v_subrev_f32_dpp v94, v177, v94 quad_perm:[2,2,2,2] row_mask:0xf bank_mask:0xf// 0000000092A8: 06BCBCFA FF00AAB1
	v_subrev_f32_dpp v95, v177, v95 quad_perm:[3,3,3,3] row_mask:0xf bank_mask:0xf// 0000000092B0: 06BEBEFA FF00FFB1
	v_subrev_f32_dpp v96, v177, v96 quad_perm:[0,0,0,0] row_mask:0xf bank_mask:0xf// 0000000092B8: 06C0C0FA FF0000B1
	v_subrev_f32_dpp v97, v177, v97 quad_perm:[1,1,1,1] row_mask:0xf bank_mask:0xf// 0000000092C0: 06C2C2FA FF0055B1
	v_subrev_f32_dpp v98, v177, v98 quad_perm:[2,2,2,2] row_mask:0xf bank_mask:0xf// 0000000092C8: 06C4C4FA FF00AAB1
	v_subrev_f32_dpp v99, v177, v99 quad_perm:[3,3,3,3] row_mask:0xf bank_mask:0xf// 0000000092D0: 06C6C6FA FF00FFB1
	v_mfma_f32_16x16x16_bf16 v[180:183], v[132:133], v[170:171], v[180:183]// 0000000092D8: D3E100B4 06D35584
	v_mul_f32_e32 v88, v64, v88                                // 0000000092E0: 0AB0B140
	v_mul_f32_e32 v89, v65, v89                                // 0000000092E4: 0AB2B341
	v_mul_f32_e32 v90, v66, v90                                // 0000000092E8: 0AB4B542
	v_mul_f32_e32 v91, v67, v91                                // 0000000092EC: 0AB6B743
	v_mul_f32_e32 v92, v68, v92                                // 0000000092F0: 0AB8B944
	v_mul_f32_e32 v93, v69, v93                                // 0000000092F4: 0ABABB45
	v_mfma_f32_16x16x16_bf16 v[184:187], v[134:135], v[170:171], v[184:187]// 0000000092F8: D3E100B8 06E35586
	v_mul_f32_e32 v94, v70, v94                                // 000000009300: 0ABCBD46
	v_mul_f32_e32 v95, v71, v95                                // 000000009304: 0ABEBF47
	v_mul_f32_e32 v96, v72, v96                                // 000000009308: 0AC0C148
	v_mul_f32_e32 v97, v73, v97                                // 00000000930C: 0AC2C349
	v_mul_f32_e32 v98, v74, v98                                // 000000009310: 0AC4C54A
	v_mul_f32_e32 v99, v75, v99                                // 000000009314: 0AC6C74B
	v_mfma_f32_16x16x16_bf16 v[188:191], v[136:137], v[170:171], v[188:191]// 000000009318: D3E100BC 06F35588
	v_cmp_u_f32_e64 s[78:79], v88, v88                         // 000000009320: D048004E 0002B158
	v_bfe_u32 v228, v88, 16, 1                                 // 000000009328: D1C800E4 02052158
	v_add3_u32 v228, v88, v228, v231                           // 000000009330: D1FF00E4 079FC958
	v_cndmask_b32_e64 v32, v228, v230, s[78:79]                // 000000009338: D1000020 013BCDE4
	v_lshrrev_b32_e32 v32, 16, v32                             // 000000009340: 20404090
	v_cmp_u_f32_e64 s[78:79], v89, v89                         // 000000009344: D048004E 0002B359
	v_bfe_u32 v228, v89, 16, 1                                 // 00000000934C: D1C800E4 02052159
	v_add3_u32 v228, v89, v228, v231                           // 000000009354: D1FF00E4 079FC959
	v_cndmask_b32_e64 v33, v228, v230, s[78:79]                // 00000000935C: D1000021 013BCDE4
	v_and_or_b32 v82, v33, v229, v32                           // 000000009364: D2010052 0483CB21
	v_cmp_u_f32_e64 s[78:79], v90, v90                         // 00000000936C: D048004E 0002B55A
	v_bfe_u32 v228, v90, 16, 1                                 // 000000009374: D1C800E4 0205215A
	v_add3_u32 v228, v90, v228, v231                           // 00000000937C: D1FF00E4 079FC95A
	v_cndmask_b32_e64 v32, v228, v230, s[78:79]                // 000000009384: D1000020 013BCDE4
	v_lshrrev_b32_e32 v32, 16, v32                             // 00000000938C: 20404090
	v_cmp_u_f32_e64 s[78:79], v91, v91                         // 000000009390: D048004E 0002B75B
	v_bfe_u32 v228, v91, 16, 1                                 // 000000009398: D1C800E4 0205215B
	v_add3_u32 v228, v91, v228, v231                           // 0000000093A0: D1FF00E4 079FC95B
	v_cndmask_b32_e64 v33, v228, v230, s[78:79]                // 0000000093A8: D1000021 013BCDE4
	v_and_or_b32 v83, v33, v229, v32                           // 0000000093B0: D2010053 0483CB21
	v_cmp_u_f32_e64 s[78:79], v92, v92                         // 0000000093B8: D048004E 0002B95C
	v_bfe_u32 v228, v92, 16, 1                                 // 0000000093C0: D1C800E4 0205215C
	v_add3_u32 v228, v92, v228, v231                           // 0000000093C8: D1FF00E4 079FC95C
	v_cndmask_b32_e64 v32, v228, v230, s[78:79]                // 0000000093D0: D1000020 013BCDE4
	v_lshrrev_b32_e32 v32, 16, v32                             // 0000000093D8: 20404090
	v_cmp_u_f32_e64 s[78:79], v93, v93                         // 0000000093DC: D048004E 0002BB5D
	v_bfe_u32 v228, v93, 16, 1                                 // 0000000093E4: D1C800E4 0205215D
	v_add3_u32 v228, v93, v228, v231                           // 0000000093EC: D1FF00E4 079FC95D
	v_cndmask_b32_e64 v33, v228, v230, s[78:79]                // 0000000093F4: D1000021 013BCDE4
	v_and_or_b32 v84, v33, v229, v32                           // 0000000093FC: D2010054 0483CB21
	v_cmp_u_f32_e64 s[78:79], v94, v94                         // 000000009404: D048004E 0002BD5E
	v_bfe_u32 v228, v94, 16, 1                                 // 00000000940C: D1C800E4 0205215E
	v_add3_u32 v228, v94, v228, v231                           // 000000009414: D1FF00E4 079FC95E
	v_cndmask_b32_e64 v32, v228, v230, s[78:79]                // 00000000941C: D1000020 013BCDE4
	v_lshrrev_b32_e32 v32, 16, v32                             // 000000009424: 20404090
	v_cmp_u_f32_e64 s[78:79], v95, v95                         // 000000009428: D048004E 0002BF5F
	v_bfe_u32 v228, v95, 16, 1                                 // 000000009430: D1C800E4 0205215F
	v_add3_u32 v228, v95, v228, v231                           // 000000009438: D1FF00E4 079FC95F
	v_cndmask_b32_e64 v33, v228, v230, s[78:79]                // 000000009440: D1000021 013BCDE4
	v_and_or_b32 v85, v33, v229, v32                           // 000000009448: D2010055 0483CB21
	v_cmp_u_f32_e64 s[78:79], v96, v96                         // 000000009450: D048004E 0002C160
	v_bfe_u32 v228, v96, 16, 1                                 // 000000009458: D1C800E4 02052160
	v_add3_u32 v228, v96, v228, v231                           // 000000009460: D1FF00E4 079FC960
	v_cndmask_b32_e64 v32, v228, v230, s[78:79]                // 000000009468: D1000020 013BCDE4
	v_lshrrev_b32_e32 v32, 16, v32                             // 000000009470: 20404090
	v_cmp_u_f32_e64 s[78:79], v97, v97                         // 000000009474: D048004E 0002C361
	v_bfe_u32 v228, v97, 16, 1                                 // 00000000947C: D1C800E4 02052161
	v_add3_u32 v228, v97, v228, v231                           // 000000009484: D1FF00E4 079FC961
	v_cndmask_b32_e64 v33, v228, v230, s[78:79]                // 00000000948C: D1000021 013BCDE4
	v_and_or_b32 v86, v33, v229, v32                           // 000000009494: D2010056 0483CB21
	v_cmp_u_f32_e64 s[78:79], v98, v98                         // 00000000949C: D048004E 0002C562
	v_bfe_u32 v228, v98, 16, 1                                 // 0000000094A4: D1C800E4 02052162
	v_add3_u32 v228, v98, v228, v231                           // 0000000094AC: D1FF00E4 079FC962
	v_cndmask_b32_e64 v32, v228, v230, s[78:79]                // 0000000094B4: D1000020 013BCDE4
	v_lshrrev_b32_e32 v32, 16, v32                             // 0000000094BC: 20404090
	v_cmp_u_f32_e64 s[78:79], v99, v99                         // 0000000094C0: D048004E 0002C763
	v_bfe_u32 v228, v99, 16, 1                                 // 0000000094C8: D1C800E4 02052163
	v_add3_u32 v228, v99, v228, v231                           // 0000000094D0: D1FF00E4 079FC963
	v_cndmask_b32_e64 v33, v228, v230, s[78:79]                // 0000000094D8: D1000021 013BCDE4
	v_and_or_b32 v87, v33, v229, v32                           // 0000000094E0: D2010057 0483CB21
	v_mfma_f32_16x16x16_bf16 v[192:195], v[138:139], v[170:171], v[192:195]// 0000000094E8: D3E100C0 0703558A
	v_mov_b32_dpp v22, v82 quad_perm:[1,0,3,2] row_mask:0xf bank_mask:0xf// 0000000094F0: 7E2C02FA FF00B152
	v_perm_b32 v58, v22, v82, v21                              // 0000000094F8: D1ED003A 0456A516
	v_mov_b32_dpp v22, v83 quad_perm:[1,0,3,2] row_mask:0xf bank_mask:0xf// 000000009500: 7E2C02FA FF00B153
	v_perm_b32 v59, v22, v83, v21                              // 000000009508: D1ED003B 0456A716
	v_mov_b32_dpp v22, v84 quad_perm:[1,0,3,2] row_mask:0xf bank_mask:0xf// 000000009510: 7E2C02FA FF00B154
	v_perm_b32 v60, v22, v84, v21                              // 000000009518: D1ED003C 0456A916
	v_mfma_f32_16x16x16_bf16 v[196:199], v[132:133], v[172:173], v[196:199]// 000000009520: D3E100C4 07135984
	ds_write_b32 v24, v58 offset:24320                         // 000000009528: D81A5F00 00003A18
	ds_write_b32 v24, v59 offset:24864                         // 000000009530: D81A6120 00003B18
	v_mfma_f32_16x16x16_bf16 v[200:203], v[134:135], v[172:173], v[200:203]// 000000009538: D3E100C8 07235986
	v_mov_b32_dpp v22, v85 quad_perm:[1,0,3,2] row_mask:0xf bank_mask:0xf// 000000009540: 7E2C02FA FF00B155
	v_perm_b32 v61, v22, v85, v21                              // 000000009548: D1ED003D 0456AB16
	v_mov_b32_dpp v22, v86 quad_perm:[1,0,3,2] row_mask:0xf bank_mask:0xf// 000000009550: 7E2C02FA FF00B156
	v_perm_b32 v62, v22, v86, v21                              // 000000009558: D1ED003E 0456AD16
	v_mov_b32_dpp v22, v87 quad_perm:[1,0,3,2] row_mask:0xf bank_mask:0xf// 000000009560: 7E2C02FA FF00B157
	v_perm_b32 v63, v22, v87, v21                              // 000000009568: D1ED003F 0456AF16
	v_mfma_f32_16x16x16_bf16 v[204:207], v[136:137], v[172:173], v[204:207]// 000000009570: D3E100CC 07335988
	ds_write_b32 v24, v60 offset:26624                         // 000000009578: D81A6800 00003C18
	ds_write_b32 v24, v61 offset:27168                         // 000000009580: D81A6A20 00003D18
	ds_write_b32 v24, v62 offset:28928                         // 000000009588: D81A7100 00003E18
	ds_write_b32 v24, v63 offset:29472                         // 000000009590: D81A7320 00003F18
	v_mfma_f32_16x16x16_bf16 v[208:211], v[138:139], v[172:173], v[208:211]// 000000009598: D3E100D0 0743598A
	v_mfma_f32_16x16x16_bf16 v[212:215], v[132:133], v[174:175], v[212:215]// 0000000095A0: D3E100D4 07535D84
	ds_write_b32 v19, v100 offset:4352                         // 0000000095A8: D81A1100 00006413
	ds_write_b32 v19, v101 offset:5408                         // 0000000095B0: D81A1520 00006513
	v_mfma_f32_16x16x16_bf16 v[216:219], v[134:135], v[174:175], v[216:219]// 0000000095B8: D3E100D8 07635D86
	v_mfma_f32_16x16x16_bf16 v[220:223], v[136:137], v[174:175], v[220:223]// 0000000095C0: D3E100DC 07735D88
	ds_write_b32 v19, v102 offset:6528                         // 0000000095C8: D81A1980 00006613
	ds_write_b32 v19, v103 offset:7584                         // 0000000095D0: D81A1DA0 00006713
	v_mfma_f32_16x16x16_bf16 v[224:227], v[138:139], v[174:175], v[224:227]// 0000000095D8: D3E100E0 07835D8A
	s_nop 0                                                    // 0000000095E0: BF800000
	s_nop 0                                                    // 0000000095E4: BF800000
	s_nop 0                                                    // 0000000095E8: BF800000
	s_barrier                                                  // 0000000095EC: BF8A0000
	v_mfma_f32_16x16x16_bf16 a[112:115], a[96:97], v[76:77], a[112:115]// 0000000095F0: D3E18070 0DC29960
	ds_read_b32 v140, v27 offset:36096                         // 0000000095F8: D86C8D00 8C00001B
	ds_read_b32 v144, v27 offset:36160                         // 000000009600: D86C8D40 9000001B
	ds_read_b32 v176, v27 offset:36352                         // 000000009608: D86C8E00 B000001B
	ds_read_b32 v177, v27 offset:36416                         // 000000009610: D86C8E40 B100001B
	v_mfma_f32_16x16x16_bf16 a[116:119], a[98:99], v[76:77], a[116:119]// 000000009618: D3E18074 0DD29962
	global_atomic_pk_add_bf16 v6, v156, s[32:33]               // 000000009620: DD488000 00209C06
	v_mfma_f32_16x16x16_bf16 a[120:123], a[100:101], v[76:77], a[120:123]// 000000009628: D3E18078 0DE29964
	s_waitcnt lgkmcnt(8)                                       // 000000009630: BF8CC87F
	s_barrier                                                  // 000000009634: BF8A0000
	v_mfma_f32_16x16x16_bf16 a[124:127], a[102:103], v[76:77], a[124:127]// 000000009638: D3E1807C 0DF29966
	v_mfma_f32_16x16x16_bf16 a[128:131], a[96:97], v[78:79], a[128:131]// 000000009640: D3E18080 0E029D60
	ds_read_b128 v[52:55], v23 offset:17408                    // 000000009648: D9FE4400 34000017
	v_mfma_f32_16x16x16_bf16 a[132:135], a[98:99], v[78:79], a[132:135]// 000000009650: D3E18084 0E129D62
	v_mfma_f32_16x16x16_bf16 a[136:139], a[100:101], v[78:79], a[136:139]// 000000009658: D3E18088 0E229D64
	ds_read_b128 v[56:59], v23 offset:18560                    // 000000009660: D9FE4880 38000017
	v_mfma_f32_16x16x16_bf16 a[140:143], a[102:103], v[78:79], a[140:143]// 000000009668: D3E1808C 0E329D66
	global_atomic_pk_add_bf16 v8, v157, s[32:33]               // 000000009670: DD488000 00209D08
	v_mfma_f32_16x16x16_bf16 a[144:147], a[96:97], v[80:81], a[144:147]// 000000009678: D3E18090 0E42A160
	ds_read_b128 v[60:63], v23 offset:19712                    // 000000009680: D9FE4D00 3C000017
	v_mfma_f32_16x16x16_bf16 a[148:151], a[98:99], v[80:81], a[148:151]// 000000009688: D3E18094 0E52A162
	v_mfma_f32_16x16x16_bf16 a[152:155], a[100:101], v[80:81], a[152:155]// 000000009690: D3E18098 0E62A164
	ds_read_b128 v[64:67], v23 offset:20864                    // 000000009698: D9FE5180 40000017
	v_mfma_f32_16x16x16_bf16 a[156:159], a[102:103], v[80:81], a[156:159]// 0000000096A0: D3E1809C 0E72A166
	v_mfma_f32_16x16x16_bf16 a[112:115], a[104:105], v[82:83], a[112:115]// 0000000096A8: D3E18070 0DC2A568
	ds_read_b128 v[68:71], v23 offset:22016                    // 0000000096B0: D9FE5600 44000017
	v_mfma_f32_16x16x16_bf16 a[116:119], a[106:107], v[82:83], a[116:119]// 0000000096B8: D3E18074 0DD2A56A
	global_atomic_pk_add_bf16 v10, v158, s[32:33]              // 0000000096C0: DD488000 00209E0A
	v_mfma_f32_16x16x16_bf16 a[120:123], a[108:109], v[82:83], a[120:123]// 0000000096C8: D3E18078 0DE2A56C
	ds_read_b128 v[72:75], v23 offset:23168                    // 0000000096D0: D9FE5A80 48000017
	v_mfma_f32_16x16x16_bf16 a[124:127], a[110:111], v[82:83], a[124:127]// 0000000096D8: D3E1807C 0DF2A56E
	v_mfma_f32_16x16x16_bf16 a[128:131], a[104:105], v[84:85], a[128:131]// 0000000096E0: D3E18080 0E02A968
	ds_write_b32 v19, v104 offset:13056                        // 0000000096E8: D81A3300 00006813
	v_mfma_f32_16x16x16_bf16 a[132:135], a[106:107], v[84:85], a[132:135]// 0000000096F0: D3E18084 0E12A96A
	v_mfma_f32_16x16x16_bf16 a[136:139], a[108:109], v[84:85], a[136:139]// 0000000096F8: D3E18088 0E22A96C
	ds_write_b32 v19, v105 offset:14112                        // 000000009700: D81A3720 00006913
	v_mfma_f32_16x16x16_bf16 a[140:143], a[110:111], v[84:85], a[140:143]// 000000009708: D3E1808C 0E32A96E
	global_atomic_pk_add_bf16 v12, v159, s[32:33]              // 000000009710: DD488000 00209F0C
	v_mfma_f32_16x16x16_bf16 a[144:147], a[104:105], v[86:87], a[144:147]// 000000009718: D3E18090 0E42AD68
	ds_write_b32 v19, v106 offset:15232                        // 000000009720: D81A3B80 00006A13
	v_mfma_f32_16x16x16_bf16 a[148:151], a[106:107], v[86:87], a[148:151]// 000000009728: D3E18094 0E52AD6A
	v_mfma_f32_16x16x16_bf16 a[152:155], a[108:109], v[86:87], a[152:155]// 000000009730: D3E18098 0E62AD6C
	ds_write_b32 v19, v107 offset:16288                        // 000000009738: D81A3FA0 00006B13
	v_mfma_f32_16x16x16_bf16 a[156:159], a[110:111], v[86:87], a[156:159]// 000000009740: D3E1809C 0E72AD6E
	s_waitcnt vmcnt(4) lgkmcnt(4)                              // 000000009748: BF8C0474
	s_barrier                                                  // 00000000974C: BF8A0000
	v_mfma_f32_16x16x16_bf16 v[148:151], a[24:25], v[52:53], 0 // 000000009750: D3E10094 0A026918
	ds_read_b128 a[96:99], v16                                 // 000000009758: DBFE0000 60000010
	buffer_load_dword v40, v1, s[8:11], 0 idxen                // 000000009760: E0502000 80022801
	v_mfma_f32_16x16x16_bf16 v[148:151], a[28:29], v[54:55], v[148:151]// 000000009768: D3E10094 0E526D1C
	v_mul_f32_e32 v140, s49, v140                              // 000000009770: 0B191831
	v_mul_f32_e32 v144, s49, v144                              // 000000009774: 0B212031
	s_nop 0                                                    // 000000009778: BF800000
	v_mfma_f32_16x16x16_bf16 v[148:151], a[32:33], v[56:57], v[148:151]// 00000000977C: D3E10094 0E527120
	ds_read_b128 a[100:103], v16 offset:512                    // 000000009784: DBFE0200 64000010
	buffer_load_dword v41, v2, s[8:11], 0 idxen                // 00000000978C: E0502000 80022902
	v_mfma_f32_16x16x16_bf16 v[148:151], a[36:37], v[58:59], v[148:151]// 000000009794: D3E10094 0E527524
	v_mfma_f32_16x16x16_bf16 v[148:151], a[40:41], v[60:61], v[148:151]// 00000000979C: D3E10094 0E527928
	ds_read_b128 a[104:107], v16 offset:2176                   // 0000000097A4: DBFE0880 68000010
	buffer_load_dword v42, v3, s[8:11], 0 idxen                // 0000000097AC: E0502000 80022A03
	v_mfma_f32_16x16x16_bf16 v[148:151], a[44:45], v[62:63], v[148:151]// 0000000097B4: D3E10094 0E527D2C
	v_perm_b32 v100, v37, v36, s63                             // 0000000097BC: D1ED0064 00FE4925
	v_perm_b32 v101, v37, v36, s64                             // 0000000097C4: D1ED0065 01024925
	v_mfma_f32_16x16x16_bf16 v[148:151], a[48:49], v[64:65], v[148:151]// 0000000097CC: D3E10094 0E528130
	ds_read_b128 a[108:111], v16 offset:2688                   // 0000000097D4: DBFE0A80 6C000010
	buffer_load_dword v43, v4, s[8:11], 0 idxen                // 0000000097DC: E0502000 80022B04
	v_mfma_f32_16x16x16_bf16 v[148:151], a[52:53], v[66:67], v[148:151]// 0000000097E4: D3E10094 0E528534
	v_perm_b32 v102, v39, v38, s63                             // 0000000097EC: D1ED0066 00FE4D27
	v_perm_b32 v103, v39, v38, s64                             // 0000000097F4: D1ED0067 01024D27
	v_mfma_f32_16x16x16_bf16 v[148:151], a[56:57], v[68:69], v[148:151]// 0000000097FC: D3E10094 0E528938
	ds_read_b128 v[108:111], v16 offset:8704                   // 000000009804: D9FE2200 6C000010
	buffer_load_dword v48, v1, s[20:23], 0 idxen               // 00000000980C: E0502000 80053001
	v_mfma_f32_16x16x16_bf16 v[148:151], a[60:61], v[70:71], v[148:151]// 000000009814: D3E10094 0E528D3C
	v_perm_b32 v104, v45, v44, s63                             // 00000000981C: D1ED0068 00FE592D
	v_perm_b32 v105, v45, v44, s64                             // 000000009824: D1ED0069 0102592D
	v_mfma_f32_16x16x16_bf16 v[148:151], a[64:65], v[72:73], v[148:151]// 00000000982C: D3E10094 0E529140
	ds_read_b128 v[112:115], v16 offset:9216                   // 000000009834: D9FE2400 70000010
	buffer_load_dword v49, v2, s[20:23], 0 idxen               // 00000000983C: E0502000 80053102
	v_mfma_f32_16x16x16_bf16 v[148:151], a[68:69], v[74:75], v[148:151]// 000000009844: D3E10094 0E529544
	v_perm_b32 v106, v47, v46, s63                             // 00000000984C: D1ED006A 00FE5D2F
	v_perm_b32 v107, v47, v46, s64                             // 000000009854: D1ED006B 01025D2F
	v_mfma_f32_16x16x16_bf16 v[152:155], a[26:27], v[52:53], 0 // 00000000985C: D3E10098 0A02691A
	ds_read_b128 v[116:119], v16 offset:10880                  // 000000009864: D9FE2A80 74000010
	buffer_load_dword v50, v3, s[20:23], 0 idxen               // 00000000986C: E0502000 80053203
	v_mfma_f32_16x16x16_bf16 v[152:155], a[30:31], v[54:55], v[152:155]// 000000009874: D3E10098 0E626D1E
	v_mov_b32_dpp v143, v140 quad_perm:[3,3,3,3] row_mask:0xf bank_mask:0xf// 00000000987C: 7F1E02FA FF00FF8C
	v_mov_b32_dpp v142, v140 quad_perm:[2,2,2,2] row_mask:0xf bank_mask:0xf// 000000009884: 7F1C02FA FF00AA8C
	v_mov_b32_dpp v141, v140 quad_perm:[1,1,1,1] row_mask:0xf bank_mask:0xf// 00000000988C: 7F1A02FA FF00558C
	v_mov_b32_dpp v140, v140 quad_perm:[0,0,0,0] row_mask:0xf bank_mask:0xf// 000000009894: 7F1802FA FF00008C
	v_mfma_f32_16x16x16_bf16 v[152:155], a[34:35], v[56:57], v[152:155]// 00000000989C: D3E10098 0E627122
	ds_read_b128 v[120:123], v16 offset:11392                  // 0000000098A4: D9FE2C80 78000010
	buffer_load_dword v51, v4, s[20:23], 0 idxen               // 0000000098AC: E0502000 80053304
	v_mfma_f32_16x16x16_bf16 v[152:155], a[38:39], v[58:59], v[152:155]// 0000000098B4: D3E10098 0E627526
	v_mov_b32_dpp v147, v144 quad_perm:[3,3,3,3] row_mask:0xf bank_mask:0xf// 0000000098BC: 7F2602FA FF00FF90
	v_mov_b32_dpp v146, v144 quad_perm:[2,2,2,2] row_mask:0xf bank_mask:0xf// 0000000098C4: 7F2402FA FF00AA90
	v_mov_b32_dpp v145, v144 quad_perm:[1,1,1,1] row_mask:0xf bank_mask:0xf// 0000000098CC: 7F2202FA FF005590
	v_mov_b32_dpp v144, v144 quad_perm:[0,0,0,0] row_mask:0xf bank_mask:0xf// 0000000098D4: 7F2002FA FF000090
	s_add_u32 s60, 0x80, s59                                   // 0000000098DC: 803C3BFF 00000080
	v_mfma_f32_16x16x16_bf16 v[152:155], a[42:43], v[60:61], v[152:155]// 0000000098E4: D3E10098 0E62792A
	buffer_load_dword v15, s[24:27], 0 idxen lds               // 0000000098EC: E0512000 8006000F
	v_mfma_f32_16x16x16_bf16 v[152:155], a[46:47], v[62:63], v[152:155]// 0000000098F4: D3E10098 0E627D2E
	s_cmp_lt_u32 s60, s58                                      // 0000000098FC: BF0A3A3C
	s_cselect_b32 s68, s68, 0                                  // 000000009900: 85448044
	s_cselect_b32 s69, s69, 0                                  // 000000009904: 85458045
	v_mfma_f32_16x16x16_bf16 v[152:155], a[50:51], v[64:65], v[152:155]// 000000009908: D3E10098 0E628132
	s_add_u32 s8, s68, s8                                      // 000000009910: 80080844
	s_addc_u32 s9, 0, s9                                       // 000000009914: 82090980
	v_mfma_f32_16x16x16_bf16 v[152:155], a[54:55], v[66:67], v[152:155]// 000000009918: D3E10098 0E628536
	s_add_u32 s20, s68, s20                                    // 000000009920: 80141444
	s_addc_u32 s21, 0, s21                                     // 000000009924: 82151580
	v_mfma_f32_16x16x16_bf16 v[152:155], a[58:59], v[68:69], v[152:155]// 000000009928: D3E10098 0E62893A
	s_mov_b32 m0, s80                                          // 000000009930: BEFC0050
	v_add_u32_e32 v15, s69, v15                                // 000000009934: 681E1E45
	v_mfma_f32_16x16x16_bf16 v[152:155], a[62:63], v[70:71], v[152:155]// 000000009938: D3E10098 0E628D3E
	s_cmp_ge_u32 s59, s73                                      // 000000009940: BF09493B
	s_cselect_b32 s66, s67, s66                                // 000000009944: 85424243
	v_mfma_f32_16x16x16_bf16 v[152:155], a[66:67], v[72:73], v[152:155]// 000000009948: D3E10098 0E629142
	s_addk_i32 s59, 0x20                                       // 000000009950: B73B0020
	s_nop 0                                                    // 000000009954: BF800000
	s_cmp_lt_i32 s59, s58                                      // 000000009958: BF043A3B
	v_mfma_f32_16x16x16_bf16 v[152:155], a[70:71], v[74:75], v[152:155]// 00000000995C: D3E10098 0E629546
	s_cbranch_scc0 label_10CC                                  // 000000009964: BF84FA72
	s_waitcnt lgkmcnt(4)                                       // 000000009968: BF8CC47F
	s_barrier                                                  // 00000000996C: BF8A0000
	v_mfma_f32_16x16x16_bf16 v[52:55], a[96:97], a[0:1], 0     // 000000009970: D3E10034 1A020160
	v_mul_f32_e32 v148, s48, v148                              // 000000009978: 0B292830
	v_mul_f32_e32 v149, s48, v149                              // 00000000997C: 0B2B2A30
	v_mfma_f32_16x16x16_bf16 v[52:55], a[98:99], a[2:3], v[52:55]// 000000009980: D3E10034 1CD20562
	ds_write_b32 v17, v44 offset:8704                          // 000000009988: D81A2200 00002C11
	ds_write_b32 v17, v45 offset:9760                          // 000000009990: D81A2620 00002D11
	v_mfma_f32_16x16x16_bf16 v[52:55], a[100:101], a[4:5], v[52:55]// 000000009998: D3E10034 1CD20964
	v_mul_f32_e32 v150, s48, v150                              // 0000000099A0: 0B2D2C30
	v_mul_f32_e32 v151, s48, v151                              // 0000000099A4: 0B2F2E30
	v_mfma_f32_16x16x16_bf16 v[52:55], a[102:103], a[6:7], v[52:55]// 0000000099A8: D3E10034 1CD20D66
	ds_write_b32 v17, v46 offset:10880                         // 0000000099B0: D81A2A80 00002E11
	ds_write_b32 v17, v47 offset:11936                         // 0000000099B8: D81A2EA0 00002F11
	v_mfma_f32_16x16x16_bf16 v[56:59], a[96:97], a[8:9], 0     // 0000000099C0: D3E10038 1A021160
	v_mul_f32_e32 v152, s48, v152                              // 0000000099C8: 0B313030
	v_mul_f32_e32 v153, s48, v153                              // 0000000099CC: 0B333230
	v_mfma_f32_16x16x16_bf16 v[56:59], a[98:99], a[10:11], v[56:59]// 0000000099D0: D3E10038 1CE21562
	v_mul_f32_e32 v154, s48, v154                              // 0000000099D8: 0B353430
	v_mul_f32_e32 v155, s48, v155                              // 0000000099DC: 0B373630
	v_mfma_f32_16x16x16_bf16 v[56:59], a[100:101], a[12:13], v[56:59]// 0000000099E0: D3E10038 1CE21964
	v_cmp_u_f32_e64 s[78:79], v148, v148                       // 0000000099E8: D048004E 00032994
	v_bfe_u32 v228, v148, 16, 1                                // 0000000099F0: D1C800E4 02052194
	v_add3_u32 v228, v148, v228, v231                          // 0000000099F8: D1FF00E4 079FC994
	v_cndmask_b32_e64 v32, v228, v230, s[78:79]                // 000000009A00: D1000020 013BCDE4
	v_lshrrev_b32_e32 v32, 16, v32                             // 000000009A08: 20404090
	v_cmp_u_f32_e64 s[78:79], v149, v149                       // 000000009A0C: D048004E 00032B95
	v_bfe_u32 v228, v149, 16, 1                                // 000000009A14: D1C800E4 02052195
	v_add3_u32 v228, v149, v228, v231                          // 000000009A1C: D1FF00E4 079FC995
	v_cndmask_b32_e64 v33, v228, v230, s[78:79]                // 000000009A24: D1000021 013BCDE4
	v_and_or_b32 v148, v33, v229, v32                          // 000000009A2C: D2010094 0483CB21
	v_cmp_u_f32_e64 s[78:79], v150, v150                       // 000000009A34: D048004E 00032D96
	v_bfe_u32 v228, v150, 16, 1                                // 000000009A3C: D1C800E4 02052196
	v_add3_u32 v228, v150, v228, v231                          // 000000009A44: D1FF00E4 079FC996
	v_cndmask_b32_e64 v32, v228, v230, s[78:79]                // 000000009A4C: D1000020 013BCDE4
	v_lshrrev_b32_e32 v32, 16, v32                             // 000000009A54: 20404090
	v_cmp_u_f32_e64 s[78:79], v151, v151                       // 000000009A58: D048004E 00032F97
	v_bfe_u32 v228, v151, 16, 1                                // 000000009A60: D1C800E4 02052197
	v_add3_u32 v228, v151, v228, v231                          // 000000009A68: D1FF00E4 079FC997
	v_cndmask_b32_e64 v33, v228, v230, s[78:79]                // 000000009A70: D1000021 013BCDE4
	v_and_or_b32 v149, v33, v229, v32                          // 000000009A78: D2010095 0483CB21
	v_mfma_f32_16x16x16_bf16 v[56:59], a[102:103], a[14:15], v[56:59]// 000000009A80: D3E10038 1CE21D66
	v_cmp_u_f32_e64 s[78:79], v152, v152                       // 000000009A88: D048004E 00033198
	v_bfe_u32 v228, v152, 16, 1                                // 000000009A90: D1C800E4 02052198
	v_add3_u32 v228, v152, v228, v231                          // 000000009A98: D1FF00E4 079FC998
	v_cndmask_b32_e64 v32, v228, v230, s[78:79]                // 000000009AA0: D1000020 013BCDE4
	v_lshrrev_b32_e32 v32, 16, v32                             // 000000009AA8: 20404090
	v_cmp_u_f32_e64 s[78:79], v153, v153                       // 000000009AAC: D048004E 00033399
	v_bfe_u32 v228, v153, 16, 1                                // 000000009AB4: D1C800E4 02052199
	v_add3_u32 v228, v153, v228, v231                          // 000000009ABC: D1FF00E4 079FC999
	v_cndmask_b32_e64 v33, v228, v230, s[78:79]                // 000000009AC4: D1000021 013BCDE4
	v_and_or_b32 v150, v33, v229, v32                          // 000000009ACC: D2010096 0483CB21
	v_cmp_u_f32_e64 s[78:79], v154, v154                       // 000000009AD4: D048004E 0003359A
	v_bfe_u32 v228, v154, 16, 1                                // 000000009ADC: D1C800E4 0205219A
	v_add3_u32 v228, v154, v228, v231                          // 000000009AE4: D1FF00E4 079FC99A
	v_cndmask_b32_e64 v32, v228, v230, s[78:79]                // 000000009AEC: D1000020 013BCDE4
	v_lshrrev_b32_e32 v32, 16, v32                             // 000000009AF4: 20404090
	v_cmp_u_f32_e64 s[78:79], v155, v155                       // 000000009AF8: D048004E 0003379B
	v_bfe_u32 v228, v155, 16, 1                                // 000000009B00: D1C800E4 0205219B
	v_add3_u32 v228, v155, v228, v231                          // 000000009B08: D1FF00E4 079FC99B
	v_cndmask_b32_e64 v33, v228, v230, s[78:79]                // 000000009B10: D1000021 013BCDE4
	v_and_or_b32 v151, v33, v229, v32                          // 000000009B18: D2010097 0483CB21
	v_mfma_f32_16x16x16_bf16 v[60:63], a[96:97], a[16:17], 0   // 000000009B20: D3E1003C 1A022160
	v_mfma_f32_16x16x16_bf16 v[60:63], a[98:99], a[18:19], v[60:63]// 000000009B28: D3E1003C 1CF22562
	ds_write_b64 v26, v[148:149] offset:31232                  // 000000009B30: D89A7A00 0000941A
	v_mfma_f32_16x16x16_bf16 v[60:63], a[100:101], a[20:21], v[60:63]// 000000009B38: D3E1003C 1CF22964
	v_mfma_f32_16x16x16_bf16 v[60:63], a[102:103], a[22:23], v[60:63]// 000000009B40: D3E1003C 1CF22D66
	ds_write_b64 v26, v[150:151] offset:31776                  // 000000009B48: D89A7C20 0000961A
	v_mfma_f32_16x16x16_bf16 v[64:67], a[104:105], a[0:1], 0   // 000000009B50: D3E10040 1A020168
	v_mfma_f32_16x16x16_bf16 v[64:67], a[106:107], a[2:3], v[64:67]// 000000009B58: D3E10040 1D02056A
	ds_read_b128 v[124:127], v18 offset:13056                  // 000000009B60: D9FE3300 7C000012
	ds_write_b32 v17, v36                                      // 000000009B68: D81A0000 00002411
	v_mfma_f32_16x16x16_bf16 v[64:67], a[108:109], a[4:5], v[64:67]// 000000009B70: D3E10040 1D02096C
	v_mfma_f32_16x16x16_bf16 v[64:67], a[110:111], a[6:7], v[64:67]// 000000009B78: D3E10040 1D020D6E
	v_mfma_f32_16x16x16_bf16 v[68:71], a[104:105], a[8:9], 0   // 000000009B80: D3E10044 1A021168
	ds_read_b128 v[128:131], v18 offset:13568                  // 000000009B88: D9FE3500 80000012
	ds_write_b32 v17, v37 offset:1056                          // 000000009B90: D81A0420 00002511
	v_mfma_f32_16x16x16_bf16 v[68:71], a[106:107], a[10:11], v[68:71]// 000000009B98: D3E10044 1D12156A
	v_mfma_f32_16x16x16_bf16 v[68:71], a[108:109], a[12:13], v[68:71]// 000000009BA0: D3E10044 1D12196C
	v_mfma_f32_16x16x16_bf16 v[68:71], a[110:111], a[14:15], v[68:71]// 000000009BA8: D3E10044 1D121D6E
	ds_read_b128 v[132:135], v18 offset:15232                  // 000000009BB0: D9FE3B80 84000012
	ds_write_b32 v17, v38 offset:2176                          // 000000009BB8: D81A0880 00002611
	v_mfma_f32_16x16x16_bf16 v[72:75], a[104:105], a[16:17], 0 // 000000009BC0: D3E10048 1A022168
	v_mfma_f32_16x16x16_bf16 v[72:75], a[106:107], a[18:19], v[72:75]// 000000009BC8: D3E10048 1D22256A
	v_mfma_f32_16x16x16_bf16 v[72:75], a[108:109], a[20:21], v[72:75]// 000000009BD0: D3E10048 1D22296C
	ds_read_b128 v[136:139], v18 offset:15744                  // 000000009BD8: D9FE3D80 88000012
	ds_write_b32 v17, v39 offset:3232                          // 000000009BE0: D81A0CA0 00002711
	v_mfma_f32_16x16x16_bf16 v[72:75], a[110:111], a[22:23], v[72:75]// 000000009BE8: D3E10048 1D222D6E
	s_cmp_lt_i32 s74, 12                                       // 000000009BF0: BF048C4A
	s_cbranch_scc0 label_17E4                                  // 000000009BF4: BF8400E6
	s_mov_b32 s60, 0xffe0fffe                                  // 000000009BF8: BEBC00FF FFE0FFFE
	s_mov_b32 s61, 0xe000fe00                                  // 000000009C00: BEBD00FF E000FE00
	s_nop 0                                                    // 000000009C08: BF800000
	s_add_u32 s62, 0, s47                                      // 000000009C0C: 803E2F80
	s_cmp_lt_i32 s74, s62                                      // 000000009C10: BF043E4A
	s_cbranch_scc1 label_172E                                  // 000000009C14: BF850028
	s_cmp_eq_i32 s74, s62                                      // 000000009C18: BF003E4A
	s_cbranch_scc1 label_1713                                  // 000000009C1C: BF85000B
	s_add_u32 s62, 4, s47                                      // 000000009C20: 803E2F84
	s_cmp_lt_i32 s74, s62                                      // 000000009C24: BF043E4A
	s_cbranch_scc1 label_174E                                  // 000000009C28: BF850043
	s_cmp_eq_i32 s74, s62                                      // 000000009C2C: BF003E4A
	s_cbranch_scc1 label_1733                                  // 000000009C30: BF850026
	s_add_u32 s62, 8, s47                                      // 000000009C34: 803E2F88
	s_cmp_lt_i32 s74, s62                                      // 000000009C38: BF043E4A
	s_cbranch_scc1 label_176E                                  // 000000009C3C: BF85005E
	s_cmp_eq_i32 s74, s62                                      // 000000009C40: BF003E4A
	s_cbranch_scc1 label_1753                                  // 000000009C44: BF850041
	s_branch label_1773                                        // 000000009C48: BF820060

0000000000009c4c <label_1713>:
	v_cndmask_b32_e64 v52, v52, v178, s[60:61]                 // 000000009C4C: D1000034 00F36534
	s_lshl_b32 s60, s60, 1                                     // 000000009C54: 8E3C813C
	s_lshl_b32 s61, s61, 1                                     // 000000009C58: 8E3D813D
	s_and_b32 s60, 0xfffeffff, s60                             // 000000009C5C: 863C3CFF FFFEFFFF
	s_and_b32 s61, 0xfffeffff, s61                             // 000000009C64: 863D3DFF FFFEFFFF
	v_cndmask_b32_e64 v53, v53, v178, s[60:61]                 // 000000009C6C: D1000035 00F36535
	s_lshl_b32 s60, s60, 1                                     // 000000009C74: 8E3C813C
	s_lshl_b32 s61, s61, 1                                     // 000000009C78: 8E3D813D
	s_and_b32 s60, 0xfffeffff, s60                             // 000000009C7C: 863C3CFF FFFEFFFF
	s_and_b32 s61, 0xfffeffff, s61                             // 000000009C84: 863D3DFF FFFEFFFF
	v_cndmask_b32_e64 v54, v54, v178, s[60:61]                 // 000000009C8C: D1000036 00F36536
	s_lshl_b32 s60, s60, 1                                     // 000000009C94: 8E3C813C
	s_lshl_b32 s61, s61, 1                                     // 000000009C98: 8E3D813D
	s_and_b32 s60, 0xfffeffff, s60                             // 000000009C9C: 863C3CFF FFFEFFFF
	s_and_b32 s61, 0xfffeffff, s61                             // 000000009CA4: 863D3DFF FFFEFFFF
	v_cndmask_b32_e64 v55, v55, v178, s[60:61]                 // 000000009CAC: D1000037 00F36537
	s_branch label_174E                                        // 000000009CB4: BF820020

0000000000009cb8 <label_172E>:
	v_mov_b32_e32 v52, v178                                    // 000000009CB8: 7E6803B2
	v_mov_b32_e32 v53, v178                                    // 000000009CBC: 7E6A03B2
	v_mov_b32_e32 v54, v178                                    // 000000009CC0: 7E6C03B2
	v_mov_b32_e32 v55, v178                                    // 000000009CC4: 7E6E03B2
	s_branch label_174E                                        // 000000009CC8: BF82001B

0000000000009ccc <label_1733>:
	v_cndmask_b32_e64 v56, v56, v178, s[60:61]                 // 000000009CCC: D1000038 00F36538
	s_lshl_b32 s60, s60, 1                                     // 000000009CD4: 8E3C813C
	s_lshl_b32 s61, s61, 1                                     // 000000009CD8: 8E3D813D
	s_and_b32 s60, 0xfffeffff, s60                             // 000000009CDC: 863C3CFF FFFEFFFF
	s_and_b32 s61, 0xfffeffff, s61                             // 000000009CE4: 863D3DFF FFFEFFFF
	v_cndmask_b32_e64 v57, v57, v178, s[60:61]                 // 000000009CEC: D1000039 00F36539
	s_lshl_b32 s60, s60, 1                                     // 000000009CF4: 8E3C813C
	s_lshl_b32 s61, s61, 1                                     // 000000009CF8: 8E3D813D
	s_and_b32 s60, 0xfffeffff, s60                             // 000000009CFC: 863C3CFF FFFEFFFF
	s_and_b32 s61, 0xfffeffff, s61                             // 000000009D04: 863D3DFF FFFEFFFF
	v_cndmask_b32_e64 v58, v58, v178, s[60:61]                 // 000000009D0C: D100003A 00F3653A
	s_lshl_b32 s60, s60, 1                                     // 000000009D14: 8E3C813C
	s_lshl_b32 s61, s61, 1                                     // 000000009D18: 8E3D813D
	s_and_b32 s60, 0xfffeffff, s60                             // 000000009D1C: 863C3CFF FFFEFFFF
	s_and_b32 s61, 0xfffeffff, s61                             // 000000009D24: 863D3DFF FFFEFFFF
	v_cndmask_b32_e64 v59, v59, v178, s[60:61]                 // 000000009D2C: D100003B 00F3653B
	s_branch label_176E                                        // 000000009D34: BF820020

0000000000009d38 <label_174E>:
	v_mov_b32_e32 v56, v178                                    // 000000009D38: 7E7003B2
	v_mov_b32_e32 v57, v178                                    // 000000009D3C: 7E7203B2
	v_mov_b32_e32 v58, v178                                    // 000000009D40: 7E7403B2
	v_mov_b32_e32 v59, v178                                    // 000000009D44: 7E7603B2
	s_branch label_176E                                        // 000000009D48: BF82001B

0000000000009d4c <label_1753>:
	v_cndmask_b32_e64 v60, v60, v178, s[60:61]                 // 000000009D4C: D100003C 00F3653C
	s_lshl_b32 s60, s60, 1                                     // 000000009D54: 8E3C813C
	s_lshl_b32 s61, s61, 1                                     // 000000009D58: 8E3D813D
	s_and_b32 s60, 0xfffeffff, s60                             // 000000009D5C: 863C3CFF FFFEFFFF
	s_and_b32 s61, 0xfffeffff, s61                             // 000000009D64: 863D3DFF FFFEFFFF
	v_cndmask_b32_e64 v61, v61, v178, s[60:61]                 // 000000009D6C: D100003D 00F3653D
	s_lshl_b32 s60, s60, 1                                     // 000000009D74: 8E3C813C
	s_lshl_b32 s61, s61, 1                                     // 000000009D78: 8E3D813D
	s_and_b32 s60, 0xfffeffff, s60                             // 000000009D7C: 863C3CFF FFFEFFFF
	s_and_b32 s61, 0xfffeffff, s61                             // 000000009D84: 863D3DFF FFFEFFFF
	v_cndmask_b32_e64 v62, v62, v178, s[60:61]                 // 000000009D8C: D100003E 00F3653E
	s_lshl_b32 s60, s60, 1                                     // 000000009D94: 8E3C813C
	s_lshl_b32 s61, s61, 1                                     // 000000009D98: 8E3D813D
	s_and_b32 s60, 0xfffeffff, s60                             // 000000009D9C: 863C3CFF FFFEFFFF
	s_and_b32 s61, 0xfffeffff, s61                             // 000000009DA4: 863D3DFF FFFEFFFF
	v_cndmask_b32_e64 v63, v63, v178, s[60:61]                 // 000000009DAC: D100003F 00F3653F
	s_branch label_1773                                        // 000000009DB4: BF820005

0000000000009db8 <label_176E>:
	v_mov_b32_e32 v60, v178                                    // 000000009DB8: 7E7803B2
	v_mov_b32_e32 v61, v178                                    // 000000009DBC: 7E7A03B2
	v_mov_b32_e32 v62, v178                                    // 000000009DC0: 7E7C03B2
	v_mov_b32_e32 v63, v178                                    // 000000009DC4: 7E7E03B2
	s_branch label_1773                                        // 000000009DC8: BF820000

0000000000009dcc <label_1773>:
	s_addk_i32 s74, 0x1                                        // 000000009DCC: B74A0001
	s_add_u32 s62, 0, s47                                      // 000000009DD0: 803E2F80
	s_cmp_lt_i32 s74, s62                                      // 000000009DD4: BF043E4A
	s_cbranch_scc1 label_179F                                  // 000000009DD8: BF850028
	s_cmp_eq_i32 s74, s62                                      // 000000009DDC: BF003E4A
	s_cbranch_scc1 label_1784                                  // 000000009DE0: BF85000B
	s_add_u32 s62, 4, s47                                      // 000000009DE4: 803E2F84
	s_cmp_lt_i32 s74, s62                                      // 000000009DE8: BF043E4A
	s_cbranch_scc1 label_17BF                                  // 000000009DEC: BF850043
	s_cmp_eq_i32 s74, s62                                      // 000000009DF0: BF003E4A
	s_cbranch_scc1 label_17A4                                  // 000000009DF4: BF850026
	s_add_u32 s62, 8, s47                                      // 000000009DF8: 803E2F88
	s_cmp_lt_i32 s74, s62                                      // 000000009DFC: BF043E4A
	s_cbranch_scc1 label_17DF                                  // 000000009E00: BF85005E
	s_cmp_eq_i32 s74, s62                                      // 000000009E04: BF003E4A
	s_cbranch_scc1 label_17C4                                  // 000000009E08: BF850041
	s_branch label_17E4                                        // 000000009E0C: BF820060

0000000000009e10 <label_1784>:
	v_cndmask_b32_e64 v64, v64, v178, s[60:61]                 // 000000009E10: D1000040 00F36540
	s_lshl_b32 s60, s60, 1                                     // 000000009E18: 8E3C813C
	s_lshl_b32 s61, s61, 1                                     // 000000009E1C: 8E3D813D
	s_and_b32 s60, 0xfffeffff, s60                             // 000000009E20: 863C3CFF FFFEFFFF
	s_and_b32 s61, 0xfffeffff, s61                             // 000000009E28: 863D3DFF FFFEFFFF
	v_cndmask_b32_e64 v65, v65, v178, s[60:61]                 // 000000009E30: D1000041 00F36541
	s_lshl_b32 s60, s60, 1                                     // 000000009E38: 8E3C813C
	s_lshl_b32 s61, s61, 1                                     // 000000009E3C: 8E3D813D
	s_and_b32 s60, 0xfffeffff, s60                             // 000000009E40: 863C3CFF FFFEFFFF
	s_and_b32 s61, 0xfffeffff, s61                             // 000000009E48: 863D3DFF FFFEFFFF
	v_cndmask_b32_e64 v66, v66, v178, s[60:61]                 // 000000009E50: D1000042 00F36542
	s_lshl_b32 s60, s60, 1                                     // 000000009E58: 8E3C813C
	s_lshl_b32 s61, s61, 1                                     // 000000009E5C: 8E3D813D
	s_and_b32 s60, 0xfffeffff, s60                             // 000000009E60: 863C3CFF FFFEFFFF
	s_and_b32 s61, 0xfffeffff, s61                             // 000000009E68: 863D3DFF FFFEFFFF
	v_cndmask_b32_e64 v67, v67, v178, s[60:61]                 // 000000009E70: D1000043 00F36543
	s_branch label_17BF                                        // 000000009E78: BF820020

0000000000009e7c <label_179F>:
	v_mov_b32_e32 v64, v178                                    // 000000009E7C: 7E8003B2
	v_mov_b32_e32 v65, v178                                    // 000000009E80: 7E8203B2
	v_mov_b32_e32 v66, v178                                    // 000000009E84: 7E8403B2
	v_mov_b32_e32 v67, v178                                    // 000000009E88: 7E8603B2
	s_branch label_17BF                                        // 000000009E8C: BF82001B

0000000000009e90 <label_17A4>:
	v_cndmask_b32_e64 v68, v68, v178, s[60:61]                 // 000000009E90: D1000044 00F36544
	s_lshl_b32 s60, s60, 1                                     // 000000009E98: 8E3C813C
	s_lshl_b32 s61, s61, 1                                     // 000000009E9C: 8E3D813D
	s_and_b32 s60, 0xfffeffff, s60                             // 000000009EA0: 863C3CFF FFFEFFFF
	s_and_b32 s61, 0xfffeffff, s61                             // 000000009EA8: 863D3DFF FFFEFFFF
	v_cndmask_b32_e64 v69, v69, v178, s[60:61]                 // 000000009EB0: D1000045 00F36545
	s_lshl_b32 s60, s60, 1                                     // 000000009EB8: 8E3C813C
	s_lshl_b32 s61, s61, 1                                     // 000000009EBC: 8E3D813D
	s_and_b32 s60, 0xfffeffff, s60                             // 000000009EC0: 863C3CFF FFFEFFFF
	s_and_b32 s61, 0xfffeffff, s61                             // 000000009EC8: 863D3DFF FFFEFFFF
	v_cndmask_b32_e64 v70, v70, v178, s[60:61]                 // 000000009ED0: D1000046 00F36546
	s_lshl_b32 s60, s60, 1                                     // 000000009ED8: 8E3C813C
	s_lshl_b32 s61, s61, 1                                     // 000000009EDC: 8E3D813D
	s_and_b32 s60, 0xfffeffff, s60                             // 000000009EE0: 863C3CFF FFFEFFFF
	s_and_b32 s61, 0xfffeffff, s61                             // 000000009EE8: 863D3DFF FFFEFFFF
	v_cndmask_b32_e64 v71, v71, v178, s[60:61]                 // 000000009EF0: D1000047 00F36547
	s_branch label_17DF                                        // 000000009EF8: BF820020

0000000000009efc <label_17BF>:
	v_mov_b32_e32 v68, v178                                    // 000000009EFC: 7E8803B2
	v_mov_b32_e32 v69, v178                                    // 000000009F00: 7E8A03B2
	v_mov_b32_e32 v70, v178                                    // 000000009F04: 7E8C03B2
	v_mov_b32_e32 v71, v178                                    // 000000009F08: 7E8E03B2
	s_branch label_17DF                                        // 000000009F0C: BF82001B

0000000000009f10 <label_17C4>:
	v_cndmask_b32_e64 v72, v72, v178, s[60:61]                 // 000000009F10: D1000048 00F36548
	s_lshl_b32 s60, s60, 1                                     // 000000009F18: 8E3C813C
	s_lshl_b32 s61, s61, 1                                     // 000000009F1C: 8E3D813D
	s_and_b32 s60, 0xfffeffff, s60                             // 000000009F20: 863C3CFF FFFEFFFF
	s_and_b32 s61, 0xfffeffff, s61                             // 000000009F28: 863D3DFF FFFEFFFF
	v_cndmask_b32_e64 v73, v73, v178, s[60:61]                 // 000000009F30: D1000049 00F36549
	s_lshl_b32 s60, s60, 1                                     // 000000009F38: 8E3C813C
	s_lshl_b32 s61, s61, 1                                     // 000000009F3C: 8E3D813D
	s_and_b32 s60, 0xfffeffff, s60                             // 000000009F40: 863C3CFF FFFEFFFF
	s_and_b32 s61, 0xfffeffff, s61                             // 000000009F48: 863D3DFF FFFEFFFF
	v_cndmask_b32_e64 v74, v74, v178, s[60:61]                 // 000000009F50: D100004A 00F3654A
	s_lshl_b32 s60, s60, 1                                     // 000000009F58: 8E3C813C
	s_lshl_b32 s61, s61, 1                                     // 000000009F5C: 8E3D813D
	s_and_b32 s60, 0xfffeffff, s60                             // 000000009F60: 863C3CFF FFFEFFFF
	s_and_b32 s61, 0xfffeffff, s61                             // 000000009F68: 863D3DFF FFFEFFFF
	v_cndmask_b32_e64 v75, v75, v178, s[60:61]                 // 000000009F70: D100004B 00F3654B
	s_branch label_17E4                                        // 000000009F78: BF820005

0000000000009f7c <label_17DF>:
	v_mov_b32_e32 v72, v178                                    // 000000009F7C: 7E9003B2
	v_mov_b32_e32 v73, v178                                    // 000000009F80: 7E9203B2
	v_mov_b32_e32 v74, v178                                    // 000000009F84: 7E9403B2
	v_mov_b32_e32 v75, v178                                    // 000000009F88: 7E9603B2
	s_branch label_17E4                                        // 000000009F8C: BF820000

0000000000009f90 <label_17E4>:
	s_addk_i32 s74, 0x1                                        // 000000009F90: B74A0001
	s_waitcnt lgkmcnt(8)                                       // 000000009F94: BF8CC87F
	s_barrier                                                  // 000000009F98: BF8A0000
	v_mfma_f32_16x16x16_bf16 v[76:79], v[108:109], a[72:73], 0 // 000000009F9C: D3E1004C 1202916C
	v_fma_f32 v52, v52, s57, -v140                             // 000000009FA4: D1CB0034 86307334
	v_fma_f32 v53, v53, s57, -v141                             // 000000009FAC: D1CB0035 86347335
	v_fma_f32 v54, v54, s57, -v142                             // 000000009FB4: D1CB0036 86387336
	v_fma_f32 v55, v55, s57, -v143                             // 000000009FBC: D1CB0037 863C7337
	v_fma_f32 v56, v56, s57, -v140                             // 000000009FC4: D1CB0038 86307338
	v_fma_f32 v57, v57, s57, -v141                             // 000000009FCC: D1CB0039 86347339
	v_mfma_f32_16x16x16_bf16 v[76:79], v[110:111], a[74:75], v[76:79]// 000000009FD4: D3E1004C 1532956E
	ds_read_b128 a[96:99], v18 offset:4352                     // 000000009FDC: DBFE1100 60000012
	ds_read_b128 a[100:103], v18 offset:4864                   // 000000009FE4: DBFE1300 64000012
	v_mfma_f32_16x16x16_bf16 v[76:79], v[112:113], a[76:77], v[76:79]// 000000009FEC: D3E1004C 15329970
	v_fma_f32 v58, v58, s57, -v142                             // 000000009FF4: D1CB003A 8638733A
	v_fma_f32 v59, v59, s57, -v143                             // 000000009FFC: D1CB003B 863C733B
	v_fma_f32 v60, v60, s57, -v140                             // 00000000A004: D1CB003C 8630733C
	v_fma_f32 v61, v61, s57, -v141                             // 00000000A00C: D1CB003D 8634733D
	v_fma_f32 v62, v62, s57, -v142                             // 00000000A014: D1CB003E 8638733E
	v_fma_f32 v63, v63, s57, -v143                             // 00000000A01C: D1CB003F 863C733F
	v_mfma_f32_16x16x16_bf16 v[76:79], v[114:115], a[78:79], v[76:79]// 00000000A024: D3E1004C 15329D72
	v_fma_f32 v64, v64, s57, -v144                             // 00000000A02C: D1CB0040 86407340
	v_fma_f32 v65, v65, s57, -v145                             // 00000000A034: D1CB0041 86447341
	v_fma_f32 v66, v66, s57, -v146                             // 00000000A03C: D1CB0042 86487342
	v_fma_f32 v67, v67, s57, -v147                             // 00000000A044: D1CB0043 864C7343
	v_fma_f32 v68, v68, s57, -v144                             // 00000000A04C: D1CB0044 86407344
	v_fma_f32 v69, v69, s57, -v145                             // 00000000A054: D1CB0045 86447345
	v_mfma_f32_16x16x16_bf16 v[80:83], v[108:109], a[80:81], 0 // 00000000A05C: D3E10050 1202A16C
	v_fma_f32 v70, v70, s57, -v146                             // 00000000A064: D1CB0046 86487346
	v_fma_f32 v71, v71, s57, -v147                             // 00000000A06C: D1CB0047 864C7347
	v_fma_f32 v72, v72, s57, -v144                             // 00000000A074: D1CB0048 86407348
	v_fma_f32 v73, v73, s57, -v145                             // 00000000A07C: D1CB0049 86447349
	v_fma_f32 v74, v74, s57, -v146                             // 00000000A084: D1CB004A 8648734A
	v_fma_f32 v75, v75, s57, -v147                             // 00000000A08C: D1CB004B 864C734B
	v_mfma_f32_16x16x16_bf16 v[80:83], v[110:111], a[82:83], v[80:83]// 00000000A094: D3E10050 1542A56E
	ds_read_b128 a[104:107], v18 offset:6528                   // 00000000A09C: DBFE1980 68000012
	ds_read_b128 a[108:111], v18 offset:7040                   // 00000000A0A4: DBFE1B80 6C000012
	v_mfma_f32_16x16x16_bf16 v[80:83], v[112:113], a[84:85], v[80:83]// 00000000A0AC: D3E10050 1542A970
	v_exp_f32_e32 v52, v52                                     // 00000000A0B4: 7E684134
	v_exp_f32_e32 v53, v53                                     // 00000000A0B8: 7E6A4135
	v_mfma_f32_16x16x16_bf16 v[80:83], v[114:115], a[86:87], v[80:83]// 00000000A0BC: D3E10050 1542AD72
	v_exp_f32_e32 v54, v54                                     // 00000000A0C4: 7E6C4136
	v_exp_f32_e32 v55, v55                                     // 00000000A0C8: 7E6E4137
	v_mfma_f32_16x16x16_bf16 v[84:87], v[108:109], a[88:89], 0 // 00000000A0CC: D3E10054 1202B16C
	v_exp_f32_e32 v56, v56                                     // 00000000A0D4: 7E704138
	v_exp_f32_e32 v57, v57                                     // 00000000A0D8: 7E724139
	v_mfma_f32_16x16x16_bf16 v[84:87], v[110:111], a[90:91], v[84:87]// 00000000A0DC: D3E10054 1552B56E
	ds_read_b32 v156, v25 offset:31232                         // 00000000A0E4: D86C7A00 9C000019
	ds_read_b32 v157, v25 offset:31248                         // 00000000A0EC: D86C7A10 9D000019
	v_mfma_f32_16x16x16_bf16 v[84:87], v[112:113], a[92:93], v[84:87]// 00000000A0F4: D3E10054 1552B970
	v_exp_f32_e32 v58, v58                                     // 00000000A0FC: 7E74413A
	v_exp_f32_e32 v59, v59                                     // 00000000A100: 7E76413B
	v_mfma_f32_16x16x16_bf16 v[84:87], v[114:115], a[94:95], v[84:87]// 00000000A104: D3E10054 1552BD72
	ds_read_b32 v158, v25 offset:31264                         // 00000000A10C: D86C7A20 9E000019
	ds_read_b32 v159, v25 offset:31280                         // 00000000A114: D86C7A30 9F000019
	v_mfma_f32_16x16x16_bf16 v[88:91], v[116:117], a[72:73], 0 // 00000000A11C: D3E10058 12029174
	v_exp_f32_e32 v60, v60                                     // 00000000A124: 7E78413C
	v_exp_f32_e32 v61, v61                                     // 00000000A128: 7E7A413D
	v_mfma_f32_16x16x16_bf16 v[88:91], v[118:119], a[74:75], v[88:91]// 00000000A12C: D3E10058 15629576
	v_exp_f32_e32 v62, v62                                     // 00000000A134: 7E7C413E
	v_exp_f32_e32 v63, v63                                     // 00000000A138: 7E7E413F
	v_mfma_f32_16x16x16_bf16 v[88:91], v[120:121], a[76:77], v[88:91]// 00000000A13C: D3E10058 15629978
	v_exp_f32_e32 v64, v64                                     // 00000000A144: 7E804140
	v_exp_f32_e32 v65, v65                                     // 00000000A148: 7E824141
	v_mfma_f32_16x16x16_bf16 v[88:91], v[122:123], a[78:79], v[88:91]// 00000000A14C: D3E10058 15629D7A
	v_exp_f32_e32 v66, v66                                     // 00000000A154: 7E844142
	v_exp_f32_e32 v67, v67                                     // 00000000A158: 7E864143
	v_mfma_f32_16x16x16_bf16 v[92:95], v[116:117], a[80:81], 0 // 00000000A15C: D3E1005C 1202A174
	v_exp_f32_e32 v68, v68                                     // 00000000A164: 7E884144
	v_exp_f32_e32 v69, v69                                     // 00000000A168: 7E8A4145
	v_mfma_f32_16x16x16_bf16 v[92:95], v[118:119], a[82:83], v[92:95]// 00000000A16C: D3E1005C 1572A576
	v_exp_f32_e32 v70, v70                                     // 00000000A174: 7E8C4146
	v_exp_f32_e32 v71, v71                                     // 00000000A178: 7E8E4147
	v_mfma_f32_16x16x16_bf16 v[92:95], v[120:121], a[84:85], v[92:95]// 00000000A17C: D3E1005C 1572A978
	v_exp_f32_e32 v72, v72                                     // 00000000A184: 7E904148
	v_exp_f32_e32 v73, v73                                     // 00000000A188: 7E924149
	v_mfma_f32_16x16x16_bf16 v[92:95], v[122:123], a[86:87], v[92:95]// 00000000A18C: D3E1005C 1572AD7A
	v_exp_f32_e32 v74, v74                                     // 00000000A194: 7E94414A
	v_exp_f32_e32 v75, v75                                     // 00000000A198: 7E96414B
	v_mfma_f32_16x16x16_bf16 v[96:99], v[116:117], a[88:89], 0 // 00000000A19C: D3E10060 1202B174
	v_cmp_u_f32_e64 s[78:79], v52, v52                         // 00000000A1A4: D048004E 00026934
	v_bfe_u32 v228, v52, 16, 1                                 // 00000000A1AC: D1C800E4 02052134
	v_add3_u32 v228, v52, v228, v231                           // 00000000A1B4: D1FF00E4 079FC934
	v_cndmask_b32_e64 v32, v228, v230, s[78:79]                // 00000000A1BC: D1000020 013BCDE4
	v_lshrrev_b32_e32 v32, 16, v32                             // 00000000A1C4: 20404090
	v_cmp_u_f32_e64 s[78:79], v53, v53                         // 00000000A1C8: D048004E 00026B35
	v_bfe_u32 v228, v53, 16, 1                                 // 00000000A1D0: D1C800E4 02052135
	v_add3_u32 v228, v53, v228, v231                           // 00000000A1D8: D1FF00E4 079FC935
	v_cndmask_b32_e64 v33, v228, v230, s[78:79]                // 00000000A1E0: D1000021 013BCDE4
	v_and_or_b32 v164, v33, v229, v32                          // 00000000A1E8: D20100A4 0483CB21
	v_cmp_u_f32_e64 s[78:79], v54, v54                         // 00000000A1F0: D048004E 00026D36
	v_bfe_u32 v228, v54, 16, 1                                 // 00000000A1F8: D1C800E4 02052136
	v_add3_u32 v228, v54, v228, v231                           // 00000000A200: D1FF00E4 079FC936
	v_cndmask_b32_e64 v32, v228, v230, s[78:79]                // 00000000A208: D1000020 013BCDE4
	v_lshrrev_b32_e32 v32, 16, v32                             // 00000000A210: 20404090
	v_cmp_u_f32_e64 s[78:79], v55, v55                         // 00000000A214: D048004E 00026F37
	v_bfe_u32 v228, v55, 16, 1                                 // 00000000A21C: D1C800E4 02052137
	v_add3_u32 v228, v55, v228, v231                           // 00000000A224: D1FF00E4 079FC937
	v_cndmask_b32_e64 v33, v228, v230, s[78:79]                // 00000000A22C: D1000021 013BCDE4
	v_and_or_b32 v165, v33, v229, v32                          // 00000000A234: D20100A5 0483CB21
	v_cmp_u_f32_e64 s[78:79], v56, v56                         // 00000000A23C: D048004E 00027138
	v_bfe_u32 v228, v56, 16, 1                                 // 00000000A244: D1C800E4 02052138
	v_add3_u32 v228, v56, v228, v231                           // 00000000A24C: D1FF00E4 079FC938
	v_cndmask_b32_e64 v32, v228, v230, s[78:79]                // 00000000A254: D1000020 013BCDE4
	v_lshrrev_b32_e32 v32, 16, v32                             // 00000000A25C: 20404090
	v_cmp_u_f32_e64 s[78:79], v57, v57                         // 00000000A260: D048004E 00027339
	v_bfe_u32 v228, v57, 16, 1                                 // 00000000A268: D1C800E4 02052139
	v_add3_u32 v228, v57, v228, v231                           // 00000000A270: D1FF00E4 079FC939
	v_cndmask_b32_e64 v33, v228, v230, s[78:79]                // 00000000A278: D1000021 013BCDE4
	v_and_or_b32 v166, v33, v229, v32                          // 00000000A280: D20100A6 0483CB21
	v_cmp_u_f32_e64 s[78:79], v58, v58                         // 00000000A288: D048004E 0002753A
	v_bfe_u32 v228, v58, 16, 1                                 // 00000000A290: D1C800E4 0205213A
	v_add3_u32 v228, v58, v228, v231                           // 00000000A298: D1FF00E4 079FC93A
	v_cndmask_b32_e64 v32, v228, v230, s[78:79]                // 00000000A2A0: D1000020 013BCDE4
	v_lshrrev_b32_e32 v32, 16, v32                             // 00000000A2A8: 20404090
	v_cmp_u_f32_e64 s[78:79], v59, v59                         // 00000000A2AC: D048004E 0002773B
	v_bfe_u32 v228, v59, 16, 1                                 // 00000000A2B4: D1C800E4 0205213B
	v_add3_u32 v228, v59, v228, v231                           // 00000000A2BC: D1FF00E4 079FC93B
	v_cndmask_b32_e64 v33, v228, v230, s[78:79]                // 00000000A2C4: D1000021 013BCDE4
	v_and_or_b32 v167, v33, v229, v32                          // 00000000A2CC: D20100A7 0483CB21
	v_cmp_u_f32_e64 s[78:79], v60, v60                         // 00000000A2D4: D048004E 0002793C
	v_bfe_u32 v228, v60, 16, 1                                 // 00000000A2DC: D1C800E4 0205213C
	v_add3_u32 v228, v60, v228, v231                           // 00000000A2E4: D1FF00E4 079FC93C
	v_cndmask_b32_e64 v32, v228, v230, s[78:79]                // 00000000A2EC: D1000020 013BCDE4
	v_lshrrev_b32_e32 v32, 16, v32                             // 00000000A2F4: 20404090
	v_cmp_u_f32_e64 s[78:79], v61, v61                         // 00000000A2F8: D048004E 00027B3D
	v_bfe_u32 v228, v61, 16, 1                                 // 00000000A300: D1C800E4 0205213D
	v_add3_u32 v228, v61, v228, v231                           // 00000000A308: D1FF00E4 079FC93D
	v_cndmask_b32_e64 v33, v228, v230, s[78:79]                // 00000000A310: D1000021 013BCDE4
	v_and_or_b32 v168, v33, v229, v32                          // 00000000A318: D20100A8 0483CB21
	v_cmp_u_f32_e64 s[78:79], v62, v62                         // 00000000A320: D048004E 00027D3E
	v_bfe_u32 v228, v62, 16, 1                                 // 00000000A328: D1C800E4 0205213E
	v_add3_u32 v228, v62, v228, v231                           // 00000000A330: D1FF00E4 079FC93E
	v_cndmask_b32_e64 v32, v228, v230, s[78:79]                // 00000000A338: D1000020 013BCDE4
	v_lshrrev_b32_e32 v32, 16, v32                             // 00000000A340: 20404090
	v_cmp_u_f32_e64 s[78:79], v63, v63                         // 00000000A344: D048004E 00027F3F
	v_bfe_u32 v228, v63, 16, 1                                 // 00000000A34C: D1C800E4 0205213F
	v_add3_u32 v228, v63, v228, v231                           // 00000000A354: D1FF00E4 079FC93F
	v_cndmask_b32_e64 v33, v228, v230, s[78:79]                // 00000000A35C: D1000021 013BCDE4
	v_and_or_b32 v169, v33, v229, v32                          // 00000000A364: D20100A9 0483CB21
	v_mfma_f32_16x16x16_bf16 v[96:99], v[118:119], a[90:91], v[96:99]// 00000000A36C: D3E10060 1582B576
	v_cmp_u_f32_e64 s[78:79], v64, v64                         // 00000000A374: D048004E 00028140
	v_bfe_u32 v228, v64, 16, 1                                 // 00000000A37C: D1C800E4 02052140
	v_add3_u32 v228, v64, v228, v231                           // 00000000A384: D1FF00E4 079FC940
	v_cndmask_b32_e64 v32, v228, v230, s[78:79]                // 00000000A38C: D1000020 013BCDE4
	v_lshrrev_b32_e32 v32, 16, v32                             // 00000000A394: 20404090
	v_cmp_u_f32_e64 s[78:79], v65, v65                         // 00000000A398: D048004E 00028341
	v_bfe_u32 v228, v65, 16, 1                                 // 00000000A3A0: D1C800E4 02052141
	v_add3_u32 v228, v65, v228, v231                           // 00000000A3A8: D1FF00E4 079FC941
	v_cndmask_b32_e64 v33, v228, v230, s[78:79]                // 00000000A3B0: D1000021 013BCDE4
	v_and_or_b32 v170, v33, v229, v32                          // 00000000A3B8: D20100AA 0483CB21
	v_cmp_u_f32_e64 s[78:79], v66, v66                         // 00000000A3C0: D048004E 00028542
	v_bfe_u32 v228, v66, 16, 1                                 // 00000000A3C8: D1C800E4 02052142
	v_add3_u32 v228, v66, v228, v231                           // 00000000A3D0: D1FF00E4 079FC942
	v_cndmask_b32_e64 v32, v228, v230, s[78:79]                // 00000000A3D8: D1000020 013BCDE4
	v_lshrrev_b32_e32 v32, 16, v32                             // 00000000A3E0: 20404090
	v_cmp_u_f32_e64 s[78:79], v67, v67                         // 00000000A3E4: D048004E 00028743
	v_bfe_u32 v228, v67, 16, 1                                 // 00000000A3EC: D1C800E4 02052143
	v_add3_u32 v228, v67, v228, v231                           // 00000000A3F4: D1FF00E4 079FC943
	v_cndmask_b32_e64 v33, v228, v230, s[78:79]                // 00000000A3FC: D1000021 013BCDE4
	v_and_or_b32 v171, v33, v229, v32                          // 00000000A404: D20100AB 0483CB21
	v_cmp_u_f32_e64 s[78:79], v68, v68                         // 00000000A40C: D048004E 00028944
	v_bfe_u32 v228, v68, 16, 1                                 // 00000000A414: D1C800E4 02052144
	v_add3_u32 v228, v68, v228, v231                           // 00000000A41C: D1FF00E4 079FC944
	v_cndmask_b32_e64 v32, v228, v230, s[78:79]                // 00000000A424: D1000020 013BCDE4
	v_lshrrev_b32_e32 v32, 16, v32                             // 00000000A42C: 20404090
	v_cmp_u_f32_e64 s[78:79], v69, v69                         // 00000000A430: D048004E 00028B45
	v_bfe_u32 v228, v69, 16, 1                                 // 00000000A438: D1C800E4 02052145
	v_add3_u32 v228, v69, v228, v231                           // 00000000A440: D1FF00E4 079FC945
	v_cndmask_b32_e64 v33, v228, v230, s[78:79]                // 00000000A448: D1000021 013BCDE4
	v_and_or_b32 v172, v33, v229, v32                          // 00000000A450: D20100AC 0483CB21
	v_cmp_u_f32_e64 s[78:79], v70, v70                         // 00000000A458: D048004E 00028D46
	v_bfe_u32 v228, v70, 16, 1                                 // 00000000A460: D1C800E4 02052146
	v_add3_u32 v228, v70, v228, v231                           // 00000000A468: D1FF00E4 079FC946
	v_cndmask_b32_e64 v32, v228, v230, s[78:79]                // 00000000A470: D1000020 013BCDE4
	v_lshrrev_b32_e32 v32, 16, v32                             // 00000000A478: 20404090
	v_cmp_u_f32_e64 s[78:79], v71, v71                         // 00000000A47C: D048004E 00028F47
	v_bfe_u32 v228, v71, 16, 1                                 // 00000000A484: D1C800E4 02052147
	v_add3_u32 v228, v71, v228, v231                           // 00000000A48C: D1FF00E4 079FC947
	v_cndmask_b32_e64 v33, v228, v230, s[78:79]                // 00000000A494: D1000021 013BCDE4
	v_and_or_b32 v173, v33, v229, v32                          // 00000000A49C: D20100AD 0483CB21
	v_cmp_u_f32_e64 s[78:79], v72, v72                         // 00000000A4A4: D048004E 00029148
	v_bfe_u32 v228, v72, 16, 1                                 // 00000000A4AC: D1C800E4 02052148
	v_add3_u32 v228, v72, v228, v231                           // 00000000A4B4: D1FF00E4 079FC948
	v_cndmask_b32_e64 v32, v228, v230, s[78:79]                // 00000000A4BC: D1000020 013BCDE4
	v_lshrrev_b32_e32 v32, 16, v32                             // 00000000A4C4: 20404090
	v_cmp_u_f32_e64 s[78:79], v73, v73                         // 00000000A4C8: D048004E 00029349
	v_bfe_u32 v228, v73, 16, 1                                 // 00000000A4D0: D1C800E4 02052149
	v_add3_u32 v228, v73, v228, v231                           // 00000000A4D8: D1FF00E4 079FC949
	v_cndmask_b32_e64 v33, v228, v230, s[78:79]                // 00000000A4E0: D1000021 013BCDE4
	v_and_or_b32 v174, v33, v229, v32                          // 00000000A4E8: D20100AE 0483CB21
	v_cmp_u_f32_e64 s[78:79], v74, v74                         // 00000000A4F0: D048004E 0002954A
	v_bfe_u32 v228, v74, 16, 1                                 // 00000000A4F8: D1C800E4 0205214A
	v_add3_u32 v228, v74, v228, v231                           // 00000000A500: D1FF00E4 079FC94A
	v_cndmask_b32_e64 v32, v228, v230, s[78:79]                // 00000000A508: D1000020 013BCDE4
	v_lshrrev_b32_e32 v32, 16, v32                             // 00000000A510: 20404090
	v_cmp_u_f32_e64 s[78:79], v75, v75                         // 00000000A514: D048004E 0002974B
	v_bfe_u32 v228, v75, 16, 1                                 // 00000000A51C: D1C800E4 0205214B
	v_add3_u32 v228, v75, v228, v231                           // 00000000A524: D1FF00E4 079FC94B
	v_cndmask_b32_e64 v33, v228, v230, s[78:79]                // 00000000A52C: D1000021 013BCDE4
	v_and_or_b32 v175, v33, v229, v32                          // 00000000A534: D20100AF 0483CB21
	v_mfma_f32_16x16x16_bf16 v[96:99], v[120:121], a[92:93], v[96:99]// 00000000A53C: D3E10060 1582B978
	s_add_u32 s32, s66, s32                                    // 00000000A544: 80202042
	s_addc_u32 s33, 0, s33                                     // 00000000A548: 82212180
	v_mfma_f32_16x16x16_bf16 v[96:99], v[122:123], a[94:95], v[96:99]// 00000000A54C: D3E10060 1582BD7A
	s_waitcnt lgkmcnt(0)                                       // 00000000A554: BF8CC07F
	s_barrier                                                  // 00000000A558: BF8A0000
	v_mfma_f32_16x16x16_bf16 v[180:183], v[124:125], v[164:165], v[180:183]// 00000000A55C: D3E100B4 06D3497C
	v_subrev_f32_dpp v76, v176, v76 quad_perm:[0,0,0,0] row_mask:0xf bank_mask:0xf// 00000000A564: 069898FA FF0000B0
	v_subrev_f32_dpp v77, v176, v77 quad_perm:[1,1,1,1] row_mask:0xf bank_mask:0xf// 00000000A56C: 069A9AFA FF0055B0
	v_subrev_f32_dpp v78, v176, v78 quad_perm:[2,2,2,2] row_mask:0xf bank_mask:0xf// 00000000A574: 069C9CFA FF00AAB0
	v_subrev_f32_dpp v79, v176, v79 quad_perm:[3,3,3,3] row_mask:0xf bank_mask:0xf// 00000000A57C: 069E9EFA FF00FFB0
	v_subrev_f32_dpp v80, v176, v80 quad_perm:[0,0,0,0] row_mask:0xf bank_mask:0xf// 00000000A584: 06A0A0FA FF0000B0
	v_subrev_f32_dpp v81, v176, v81 quad_perm:[1,1,1,1] row_mask:0xf bank_mask:0xf// 00000000A58C: 06A2A2FA FF0055B0
	v_mfma_f32_16x16x16_bf16 v[184:187], v[126:127], v[164:165], v[184:187]// 00000000A594: D3E100B8 06E3497E
	v_subrev_f32_dpp v82, v176, v82 quad_perm:[2,2,2,2] row_mask:0xf bank_mask:0xf// 00000000A59C: 06A4A4FA FF00AAB0
	v_subrev_f32_dpp v83, v176, v83 quad_perm:[3,3,3,3] row_mask:0xf bank_mask:0xf// 00000000A5A4: 06A6A6FA FF00FFB0
	v_subrev_f32_dpp v84, v176, v84 quad_perm:[0,0,0,0] row_mask:0xf bank_mask:0xf// 00000000A5AC: 06A8A8FA FF0000B0
	v_subrev_f32_dpp v85, v176, v85 quad_perm:[1,1,1,1] row_mask:0xf bank_mask:0xf// 00000000A5B4: 06AAAAFA FF0055B0
	v_subrev_f32_dpp v86, v176, v86 quad_perm:[2,2,2,2] row_mask:0xf bank_mask:0xf// 00000000A5BC: 06ACACFA FF00AAB0
	v_subrev_f32_dpp v87, v176, v87 quad_perm:[3,3,3,3] row_mask:0xf bank_mask:0xf// 00000000A5C4: 06AEAEFA FF00FFB0
	v_mfma_f32_16x16x16_bf16 v[188:191], v[128:129], v[164:165], v[188:191]// 00000000A5CC: D3E100BC 06F34980
	v_mul_f32_e32 v76, v52, v76                                // 00000000A5D4: 0A989934
	v_mul_f32_e32 v77, v53, v77                                // 00000000A5D8: 0A9A9B35
	v_mul_f32_e32 v78, v54, v78                                // 00000000A5DC: 0A9C9D36
	v_mul_f32_e32 v79, v55, v79                                // 00000000A5E0: 0A9E9F37
	v_mul_f32_e32 v80, v56, v80                                // 00000000A5E4: 0AA0A138
	v_mul_f32_e32 v81, v57, v81                                // 00000000A5E8: 0AA2A339
	v_mfma_f32_16x16x16_bf16 v[192:195], v[130:131], v[164:165], v[192:195]// 00000000A5EC: D3E100C0 07034982
	v_mul_f32_e32 v82, v58, v82                                // 00000000A5F4: 0AA4A53A
	v_mul_f32_e32 v83, v59, v83                                // 00000000A5F8: 0AA6A73B
	v_mul_f32_e32 v84, v60, v84                                // 00000000A5FC: 0AA8A93C
	v_mul_f32_e32 v85, v61, v85                                // 00000000A600: 0AAAAB3D
	v_mul_f32_e32 v86, v62, v86                                // 00000000A604: 0AACAD3E
	v_mul_f32_e32 v87, v63, v87                                // 00000000A608: 0AAEAF3F
	v_mfma_f32_16x16x16_bf16 v[196:199], v[124:125], v[166:167], v[196:199]// 00000000A60C: D3E100C4 07134D7C
	v_cmp_u_f32_e64 s[78:79], v76, v76                         // 00000000A614: D048004E 0002994C
	v_bfe_u32 v228, v76, 16, 1                                 // 00000000A61C: D1C800E4 0205214C
	v_add3_u32 v228, v76, v228, v231                           // 00000000A624: D1FF00E4 079FC94C
	v_cndmask_b32_e64 v32, v228, v230, s[78:79]                // 00000000A62C: D1000020 013BCDE4
	v_lshrrev_b32_e32 v32, 16, v32                             // 00000000A634: 20404090
	v_cmp_u_f32_e64 s[78:79], v77, v77                         // 00000000A638: D048004E 00029B4D
	v_bfe_u32 v228, v77, 16, 1                                 // 00000000A640: D1C800E4 0205214D
	v_add3_u32 v228, v77, v228, v231                           // 00000000A648: D1FF00E4 079FC94D
	v_cndmask_b32_e64 v33, v228, v230, s[78:79]                // 00000000A650: D1000021 013BCDE4
	v_and_or_b32 v76, v33, v229, v32                           // 00000000A658: D201004C 0483CB21
	v_cmp_u_f32_e64 s[78:79], v78, v78                         // 00000000A660: D048004E 00029D4E
	v_bfe_u32 v228, v78, 16, 1                                 // 00000000A668: D1C800E4 0205214E
	v_add3_u32 v228, v78, v228, v231                           // 00000000A670: D1FF00E4 079FC94E
	v_cndmask_b32_e64 v32, v228, v230, s[78:79]                // 00000000A678: D1000020 013BCDE4
	v_lshrrev_b32_e32 v32, 16, v32                             // 00000000A680: 20404090
	v_cmp_u_f32_e64 s[78:79], v79, v79                         // 00000000A684: D048004E 00029F4F
	v_bfe_u32 v228, v79, 16, 1                                 // 00000000A68C: D1C800E4 0205214F
	v_add3_u32 v228, v79, v228, v231                           // 00000000A694: D1FF00E4 079FC94F
	v_cndmask_b32_e64 v33, v228, v230, s[78:79]                // 00000000A69C: D1000021 013BCDE4
	v_and_or_b32 v77, v33, v229, v32                           // 00000000A6A4: D201004D 0483CB21
	v_cmp_u_f32_e64 s[78:79], v80, v80                         // 00000000A6AC: D048004E 0002A150
	v_bfe_u32 v228, v80, 16, 1                                 // 00000000A6B4: D1C800E4 02052150
	v_add3_u32 v228, v80, v228, v231                           // 00000000A6BC: D1FF00E4 079FC950
	v_cndmask_b32_e64 v32, v228, v230, s[78:79]                // 00000000A6C4: D1000020 013BCDE4
	v_lshrrev_b32_e32 v32, 16, v32                             // 00000000A6CC: 20404090
	v_cmp_u_f32_e64 s[78:79], v81, v81                         // 00000000A6D0: D048004E 0002A351
	v_bfe_u32 v228, v81, 16, 1                                 // 00000000A6D8: D1C800E4 02052151
	v_add3_u32 v228, v81, v228, v231                           // 00000000A6E0: D1FF00E4 079FC951
	v_cndmask_b32_e64 v33, v228, v230, s[78:79]                // 00000000A6E8: D1000021 013BCDE4
	v_and_or_b32 v78, v33, v229, v32                           // 00000000A6F0: D201004E 0483CB21
	v_cmp_u_f32_e64 s[78:79], v82, v82                         // 00000000A6F8: D048004E 0002A552
	v_bfe_u32 v228, v82, 16, 1                                 // 00000000A700: D1C800E4 02052152
	v_add3_u32 v228, v82, v228, v231                           // 00000000A708: D1FF00E4 079FC952
	v_cndmask_b32_e64 v32, v228, v230, s[78:79]                // 00000000A710: D1000020 013BCDE4
	v_lshrrev_b32_e32 v32, 16, v32                             // 00000000A718: 20404090
	v_cmp_u_f32_e64 s[78:79], v83, v83                         // 00000000A71C: D048004E 0002A753
	v_bfe_u32 v228, v83, 16, 1                                 // 00000000A724: D1C800E4 02052153
	v_add3_u32 v228, v83, v228, v231                           // 00000000A72C: D1FF00E4 079FC953
	v_cndmask_b32_e64 v33, v228, v230, s[78:79]                // 00000000A734: D1000021 013BCDE4
	v_and_or_b32 v79, v33, v229, v32                           // 00000000A73C: D201004F 0483CB21
	v_cmp_u_f32_e64 s[78:79], v84, v84                         // 00000000A744: D048004E 0002A954
	v_bfe_u32 v228, v84, 16, 1                                 // 00000000A74C: D1C800E4 02052154
	v_add3_u32 v228, v84, v228, v231                           // 00000000A754: D1FF00E4 079FC954
	v_cndmask_b32_e64 v32, v228, v230, s[78:79]                // 00000000A75C: D1000020 013BCDE4
	v_lshrrev_b32_e32 v32, 16, v32                             // 00000000A764: 20404090
	v_cmp_u_f32_e64 s[78:79], v85, v85                         // 00000000A768: D048004E 0002AB55
	v_bfe_u32 v228, v85, 16, 1                                 // 00000000A770: D1C800E4 02052155
	v_add3_u32 v228, v85, v228, v231                           // 00000000A778: D1FF00E4 079FC955
	v_cndmask_b32_e64 v33, v228, v230, s[78:79]                // 00000000A780: D1000021 013BCDE4
	v_and_or_b32 v80, v33, v229, v32                           // 00000000A788: D2010050 0483CB21
	v_cmp_u_f32_e64 s[78:79], v86, v86                         // 00000000A790: D048004E 0002AD56
	v_bfe_u32 v228, v86, 16, 1                                 // 00000000A798: D1C800E4 02052156
	v_add3_u32 v228, v86, v228, v231                           // 00000000A7A0: D1FF00E4 079FC956
	v_cndmask_b32_e64 v32, v228, v230, s[78:79]                // 00000000A7A8: D1000020 013BCDE4
	v_lshrrev_b32_e32 v32, 16, v32                             // 00000000A7B0: 20404090
	v_cmp_u_f32_e64 s[78:79], v87, v87                         // 00000000A7B4: D048004E 0002AF57
	v_bfe_u32 v228, v87, 16, 1                                 // 00000000A7BC: D1C800E4 02052157
	v_add3_u32 v228, v87, v228, v231                           // 00000000A7C4: D1FF00E4 079FC957
	v_cndmask_b32_e64 v33, v228, v230, s[78:79]                // 00000000A7CC: D1000021 013BCDE4
	v_and_or_b32 v81, v33, v229, v32                           // 00000000A7D4: D2010051 0483CB21
	v_mfma_f32_16x16x16_bf16 v[200:203], v[126:127], v[166:167], v[200:203]// 00000000A7DC: D3E100C8 07234D7E
	v_mov_b32_dpp v22, v76 quad_perm:[1,0,3,2] row_mask:0xf bank_mask:0xf// 00000000A7E4: 7E2C02FA FF00B14C
	v_perm_b32 v52, v22, v76, v21                              // 00000000A7EC: D1ED0034 04569916
	v_mov_b32_dpp v22, v77 quad_perm:[1,0,3,2] row_mask:0xf bank_mask:0xf// 00000000A7F4: 7E2C02FA FF00B14D
	v_perm_b32 v53, v22, v77, v21                              // 00000000A7FC: D1ED0035 04569B16
	v_mov_b32_dpp v22, v78 quad_perm:[1,0,3,2] row_mask:0xf bank_mask:0xf// 00000000A804: 7E2C02FA FF00B14E
	v_perm_b32 v54, v22, v78, v21                              // 00000000A80C: D1ED0036 04569D16
	v_mfma_f32_16x16x16_bf16 v[204:207], v[128:129], v[166:167], v[204:207]// 00000000A814: D3E100CC 07334D80
	ds_write_b32 v24, v52 offset:17408                         // 00000000A81C: D81A4400 00003418
	ds_write_b32 v24, v53 offset:17952                         // 00000000A824: D81A4620 00003518
	v_mfma_f32_16x16x16_bf16 v[208:211], v[130:131], v[166:167], v[208:211]// 00000000A82C: D3E100D0 07434D82
	v_mov_b32_dpp v22, v79 quad_perm:[1,0,3,2] row_mask:0xf bank_mask:0xf// 00000000A834: 7E2C02FA FF00B14F
	v_perm_b32 v55, v22, v79, v21                              // 00000000A83C: D1ED0037 04569F16
	v_mov_b32_dpp v22, v80 quad_perm:[1,0,3,2] row_mask:0xf bank_mask:0xf// 00000000A844: 7E2C02FA FF00B150
	v_perm_b32 v56, v22, v80, v21                              // 00000000A84C: D1ED0038 0456A116
	v_mov_b32_dpp v22, v81 quad_perm:[1,0,3,2] row_mask:0xf bank_mask:0xf// 00000000A854: 7E2C02FA FF00B151
	v_perm_b32 v57, v22, v81, v21                              // 00000000A85C: D1ED0039 0456A316
	v_mfma_f32_16x16x16_bf16 v[212:215], v[124:125], v[168:169], v[212:215]// 00000000A864: D3E100D4 0753517C
	ds_write_b32 v24, v54 offset:19712                         // 00000000A86C: D81A4D00 00003618
	ds_write_b32 v24, v55 offset:20256                         // 00000000A874: D81A4F20 00003718
	v_mfma_f32_16x16x16_bf16 v[216:219], v[126:127], v[168:169], v[216:219]// 00000000A87C: D3E100D8 0763517E
	v_subrev_f32_dpp v88, v177, v88 quad_perm:[0,0,0,0] row_mask:0xf bank_mask:0xf// 00000000A884: 06B0B0FA FF0000B1
	v_subrev_f32_dpp v89, v177, v89 quad_perm:[1,1,1,1] row_mask:0xf bank_mask:0xf// 00000000A88C: 06B2B2FA FF0055B1
	v_subrev_f32_dpp v90, v177, v90 quad_perm:[2,2,2,2] row_mask:0xf bank_mask:0xf// 00000000A894: 06B4B4FA FF00AAB1
	v_subrev_f32_dpp v91, v177, v91 quad_perm:[3,3,3,3] row_mask:0xf bank_mask:0xf// 00000000A89C: 06B6B6FA FF00FFB1
	v_subrev_f32_dpp v92, v177, v92 quad_perm:[0,0,0,0] row_mask:0xf bank_mask:0xf// 00000000A8A4: 06B8B8FA FF0000B1
	v_subrev_f32_dpp v93, v177, v93 quad_perm:[1,1,1,1] row_mask:0xf bank_mask:0xf// 00000000A8AC: 06BABAFA FF0055B1
	v_mfma_f32_16x16x16_bf16 v[220:223], v[128:129], v[168:169], v[220:223]// 00000000A8B4: D3E100DC 07735180
	ds_write_b32 v24, v56 offset:22016                         // 00000000A8BC: D81A5600 00003818
	ds_write_b32 v24, v57 offset:22560                         // 00000000A8C4: D81A5820 00003918
	v_mfma_f32_16x16x16_bf16 v[224:227], v[130:131], v[168:169], v[224:227]// 00000000A8CC: D3E100E0 07835182
	v_subrev_f32_dpp v94, v177, v94 quad_perm:[2,2,2,2] row_mask:0xf bank_mask:0xf// 00000000A8D4: 06BCBCFA FF00AAB1
	v_subrev_f32_dpp v95, v177, v95 quad_perm:[3,3,3,3] row_mask:0xf bank_mask:0xf// 00000000A8DC: 06BEBEFA FF00FFB1
	v_subrev_f32_dpp v96, v177, v96 quad_perm:[0,0,0,0] row_mask:0xf bank_mask:0xf// 00000000A8E4: 06C0C0FA FF0000B1
	v_subrev_f32_dpp v97, v177, v97 quad_perm:[1,1,1,1] row_mask:0xf bank_mask:0xf// 00000000A8EC: 06C2C2FA FF0055B1
	v_subrev_f32_dpp v98, v177, v98 quad_perm:[2,2,2,2] row_mask:0xf bank_mask:0xf// 00000000A8F4: 06C4C4FA FF00AAB1
	v_subrev_f32_dpp v99, v177, v99 quad_perm:[3,3,3,3] row_mask:0xf bank_mask:0xf// 00000000A8FC: 06C6C6FA FF00FFB1
	v_mfma_f32_16x16x16_bf16 v[180:183], v[132:133], v[170:171], v[180:183]// 00000000A904: D3E100B4 06D35584
	v_mul_f32_e32 v88, v64, v88                                // 00000000A90C: 0AB0B140
	v_mul_f32_e32 v89, v65, v89                                // 00000000A910: 0AB2B341
	v_mul_f32_e32 v90, v66, v90                                // 00000000A914: 0AB4B542
	v_mul_f32_e32 v91, v67, v91                                // 00000000A918: 0AB6B743
	v_mul_f32_e32 v92, v68, v92                                // 00000000A91C: 0AB8B944
	v_mul_f32_e32 v93, v69, v93                                // 00000000A920: 0ABABB45
	v_mfma_f32_16x16x16_bf16 v[184:187], v[134:135], v[170:171], v[184:187]// 00000000A924: D3E100B8 06E35586
	v_mul_f32_e32 v94, v70, v94                                // 00000000A92C: 0ABCBD46
	v_mul_f32_e32 v95, v71, v95                                // 00000000A930: 0ABEBF47
	v_mul_f32_e32 v96, v72, v96                                // 00000000A934: 0AC0C148
	v_mul_f32_e32 v97, v73, v97                                // 00000000A938: 0AC2C349
	v_mul_f32_e32 v98, v74, v98                                // 00000000A93C: 0AC4C54A
	v_mul_f32_e32 v99, v75, v99                                // 00000000A940: 0AC6C74B
	v_mfma_f32_16x16x16_bf16 v[188:191], v[136:137], v[170:171], v[188:191]// 00000000A944: D3E100BC 06F35588
	v_cmp_u_f32_e64 s[78:79], v88, v88                         // 00000000A94C: D048004E 0002B158
	v_bfe_u32 v228, v88, 16, 1                                 // 00000000A954: D1C800E4 02052158
	v_add3_u32 v228, v88, v228, v231                           // 00000000A95C: D1FF00E4 079FC958
	v_cndmask_b32_e64 v32, v228, v230, s[78:79]                // 00000000A964: D1000020 013BCDE4
	v_lshrrev_b32_e32 v32, 16, v32                             // 00000000A96C: 20404090
	v_cmp_u_f32_e64 s[78:79], v89, v89                         // 00000000A970: D048004E 0002B359
	v_bfe_u32 v228, v89, 16, 1                                 // 00000000A978: D1C800E4 02052159
	v_add3_u32 v228, v89, v228, v231                           // 00000000A980: D1FF00E4 079FC959
	v_cndmask_b32_e64 v33, v228, v230, s[78:79]                // 00000000A988: D1000021 013BCDE4
	v_and_or_b32 v82, v33, v229, v32                           // 00000000A990: D2010052 0483CB21
	v_cmp_u_f32_e64 s[78:79], v90, v90                         // 00000000A998: D048004E 0002B55A
	v_bfe_u32 v228, v90, 16, 1                                 // 00000000A9A0: D1C800E4 0205215A
	v_add3_u32 v228, v90, v228, v231                           // 00000000A9A8: D1FF00E4 079FC95A
	v_cndmask_b32_e64 v32, v228, v230, s[78:79]                // 00000000A9B0: D1000020 013BCDE4
	v_lshrrev_b32_e32 v32, 16, v32                             // 00000000A9B8: 20404090
	v_cmp_u_f32_e64 s[78:79], v91, v91                         // 00000000A9BC: D048004E 0002B75B
	v_bfe_u32 v228, v91, 16, 1                                 // 00000000A9C4: D1C800E4 0205215B
	v_add3_u32 v228, v91, v228, v231                           // 00000000A9CC: D1FF00E4 079FC95B
	v_cndmask_b32_e64 v33, v228, v230, s[78:79]                // 00000000A9D4: D1000021 013BCDE4
	v_and_or_b32 v83, v33, v229, v32                           // 00000000A9DC: D2010053 0483CB21
	v_cmp_u_f32_e64 s[78:79], v92, v92                         // 00000000A9E4: D048004E 0002B95C
	v_bfe_u32 v228, v92, 16, 1                                 // 00000000A9EC: D1C800E4 0205215C
	v_add3_u32 v228, v92, v228, v231                           // 00000000A9F4: D1FF00E4 079FC95C
	v_cndmask_b32_e64 v32, v228, v230, s[78:79]                // 00000000A9FC: D1000020 013BCDE4
	v_lshrrev_b32_e32 v32, 16, v32                             // 00000000AA04: 20404090
	v_cmp_u_f32_e64 s[78:79], v93, v93                         // 00000000AA08: D048004E 0002BB5D
	v_bfe_u32 v228, v93, 16, 1                                 // 00000000AA10: D1C800E4 0205215D
	v_add3_u32 v228, v93, v228, v231                           // 00000000AA18: D1FF00E4 079FC95D
	v_cndmask_b32_e64 v33, v228, v230, s[78:79]                // 00000000AA20: D1000021 013BCDE4
	v_and_or_b32 v84, v33, v229, v32                           // 00000000AA28: D2010054 0483CB21
	v_cmp_u_f32_e64 s[78:79], v94, v94                         // 00000000AA30: D048004E 0002BD5E
	v_bfe_u32 v228, v94, 16, 1                                 // 00000000AA38: D1C800E4 0205215E
	v_add3_u32 v228, v94, v228, v231                           // 00000000AA40: D1FF00E4 079FC95E
	v_cndmask_b32_e64 v32, v228, v230, s[78:79]                // 00000000AA48: D1000020 013BCDE4
	v_lshrrev_b32_e32 v32, 16, v32                             // 00000000AA50: 20404090
	v_cmp_u_f32_e64 s[78:79], v95, v95                         // 00000000AA54: D048004E 0002BF5F
	v_bfe_u32 v228, v95, 16, 1                                 // 00000000AA5C: D1C800E4 0205215F
	v_add3_u32 v228, v95, v228, v231                           // 00000000AA64: D1FF00E4 079FC95F
	v_cndmask_b32_e64 v33, v228, v230, s[78:79]                // 00000000AA6C: D1000021 013BCDE4
	v_and_or_b32 v85, v33, v229, v32                           // 00000000AA74: D2010055 0483CB21
	v_cmp_u_f32_e64 s[78:79], v96, v96                         // 00000000AA7C: D048004E 0002C160
	v_bfe_u32 v228, v96, 16, 1                                 // 00000000AA84: D1C800E4 02052160
	v_add3_u32 v228, v96, v228, v231                           // 00000000AA8C: D1FF00E4 079FC960
	v_cndmask_b32_e64 v32, v228, v230, s[78:79]                // 00000000AA94: D1000020 013BCDE4
	v_lshrrev_b32_e32 v32, 16, v32                             // 00000000AA9C: 20404090
	v_cmp_u_f32_e64 s[78:79], v97, v97                         // 00000000AAA0: D048004E 0002C361
	v_bfe_u32 v228, v97, 16, 1                                 // 00000000AAA8: D1C800E4 02052161
	v_add3_u32 v228, v97, v228, v231                           // 00000000AAB0: D1FF00E4 079FC961
	v_cndmask_b32_e64 v33, v228, v230, s[78:79]                // 00000000AAB8: D1000021 013BCDE4
	v_and_or_b32 v86, v33, v229, v32                           // 00000000AAC0: D2010056 0483CB21
	v_cmp_u_f32_e64 s[78:79], v98, v98                         // 00000000AAC8: D048004E 0002C562
	v_bfe_u32 v228, v98, 16, 1                                 // 00000000AAD0: D1C800E4 02052162
	v_add3_u32 v228, v98, v228, v231                           // 00000000AAD8: D1FF00E4 079FC962
	v_cndmask_b32_e64 v32, v228, v230, s[78:79]                // 00000000AAE0: D1000020 013BCDE4
	v_lshrrev_b32_e32 v32, 16, v32                             // 00000000AAE8: 20404090
	v_cmp_u_f32_e64 s[78:79], v99, v99                         // 00000000AAEC: D048004E 0002C763
	v_bfe_u32 v228, v99, 16, 1                                 // 00000000AAF4: D1C800E4 02052163
	v_add3_u32 v228, v99, v228, v231                           // 00000000AAFC: D1FF00E4 079FC963
	v_cndmask_b32_e64 v33, v228, v230, s[78:79]                // 00000000AB04: D1000021 013BCDE4
	v_and_or_b32 v87, v33, v229, v32                           // 00000000AB0C: D2010057 0483CB21
	v_mfma_f32_16x16x16_bf16 v[192:195], v[138:139], v[170:171], v[192:195]// 00000000AB14: D3E100C0 0703558A
	v_mov_b32_dpp v22, v82 quad_perm:[1,0,3,2] row_mask:0xf bank_mask:0xf// 00000000AB1C: 7E2C02FA FF00B152
	v_perm_b32 v58, v22, v82, v21                              // 00000000AB24: D1ED003A 0456A516
	v_mov_b32_dpp v22, v83 quad_perm:[1,0,3,2] row_mask:0xf bank_mask:0xf// 00000000AB2C: 7E2C02FA FF00B153
	v_perm_b32 v59, v22, v83, v21                              // 00000000AB34: D1ED003B 0456A716
	v_mov_b32_dpp v22, v84 quad_perm:[1,0,3,2] row_mask:0xf bank_mask:0xf// 00000000AB3C: 7E2C02FA FF00B154
	v_perm_b32 v60, v22, v84, v21                              // 00000000AB44: D1ED003C 0456A916
	v_mfma_f32_16x16x16_bf16 v[196:199], v[132:133], v[172:173], v[196:199]// 00000000AB4C: D3E100C4 07135984
	ds_write_b32 v24, v58 offset:24320                         // 00000000AB54: D81A5F00 00003A18
	ds_write_b32 v24, v59 offset:24864                         // 00000000AB5C: D81A6120 00003B18
	v_mfma_f32_16x16x16_bf16 v[200:203], v[134:135], v[172:173], v[200:203]// 00000000AB64: D3E100C8 07235986
	v_mov_b32_dpp v22, v85 quad_perm:[1,0,3,2] row_mask:0xf bank_mask:0xf// 00000000AB6C: 7E2C02FA FF00B155
	v_perm_b32 v61, v22, v85, v21                              // 00000000AB74: D1ED003D 0456AB16
	v_mov_b32_dpp v22, v86 quad_perm:[1,0,3,2] row_mask:0xf bank_mask:0xf// 00000000AB7C: 7E2C02FA FF00B156
	v_perm_b32 v62, v22, v86, v21                              // 00000000AB84: D1ED003E 0456AD16
	v_mov_b32_dpp v22, v87 quad_perm:[1,0,3,2] row_mask:0xf bank_mask:0xf// 00000000AB8C: 7E2C02FA FF00B157
	v_perm_b32 v63, v22, v87, v21                              // 00000000AB94: D1ED003F 0456AF16
	v_mfma_f32_16x16x16_bf16 v[204:207], v[136:137], v[172:173], v[204:207]// 00000000AB9C: D3E100CC 07335988
	ds_write_b32 v24, v60 offset:26624                         // 00000000ABA4: D81A6800 00003C18
	ds_write_b32 v24, v61 offset:27168                         // 00000000ABAC: D81A6A20 00003D18
	ds_write_b32 v24, v62 offset:28928                         // 00000000ABB4: D81A7100 00003E18
	ds_write_b32 v24, v63 offset:29472                         // 00000000ABBC: D81A7320 00003F18
	v_mfma_f32_16x16x16_bf16 v[208:211], v[138:139], v[172:173], v[208:211]// 00000000ABC4: D3E100D0 0743598A
	v_mfma_f32_16x16x16_bf16 v[212:215], v[132:133], v[174:175], v[212:215]// 00000000ABCC: D3E100D4 07535D84
	ds_write_b32 v19, v100 offset:4352                         // 00000000ABD4: D81A1100 00006413
	ds_write_b32 v19, v101 offset:5408                         // 00000000ABDC: D81A1520 00006513
	v_mfma_f32_16x16x16_bf16 v[216:219], v[134:135], v[174:175], v[216:219]// 00000000ABE4: D3E100D8 07635D86
	v_mfma_f32_16x16x16_bf16 v[220:223], v[136:137], v[174:175], v[220:223]// 00000000ABEC: D3E100DC 07735D88
	ds_write_b32 v19, v102 offset:6528                         // 00000000ABF4: D81A1980 00006613
	ds_write_b32 v19, v103 offset:7584                         // 00000000ABFC: D81A1DA0 00006713
	v_mfma_f32_16x16x16_bf16 v[224:227], v[138:139], v[174:175], v[224:227]// 00000000AC04: D3E100E0 07835D8A
	s_nop 0                                                    // 00000000AC0C: BF800000
	s_nop 0                                                    // 00000000AC10: BF800000
	s_nop 0                                                    // 00000000AC14: BF800000
	s_barrier                                                  // 00000000AC18: BF8A0000
	v_mfma_f32_16x16x16_bf16 a[112:115], a[96:97], v[76:77], a[112:115]// 00000000AC1C: D3E18070 0DC29960
	ds_read_b32 v140, v27 offset:35584                         // 00000000AC24: D86C8B00 8C00001B
	ds_read_b32 v144, v27 offset:35648                         // 00000000AC2C: D86C8B40 9000001B
	ds_read_b32 v176, v27 offset:35840                         // 00000000AC34: D86C8C00 B000001B
	ds_read_b32 v177, v27 offset:35904                         // 00000000AC3C: D86C8C40 B100001B
	v_mfma_f32_16x16x16_bf16 a[116:119], a[98:99], v[76:77], a[116:119]// 00000000AC44: D3E18074 0DD29962
	global_atomic_pk_add_bf16 v6, v156, s[32:33]               // 00000000AC4C: DD488000 00209C06
	v_mfma_f32_16x16x16_bf16 a[120:123], a[100:101], v[76:77], a[120:123]// 00000000AC54: D3E18078 0DE29964
	s_waitcnt lgkmcnt(8)                                       // 00000000AC5C: BF8CC87F
	s_barrier                                                  // 00000000AC60: BF8A0000
	v_mfma_f32_16x16x16_bf16 a[124:127], a[102:103], v[76:77], a[124:127]// 00000000AC64: D3E1807C 0DF29966
	v_mfma_f32_16x16x16_bf16 a[128:131], a[96:97], v[78:79], a[128:131]// 00000000AC6C: D3E18080 0E029D60
	ds_read_b128 v[52:55], v23 offset:17408                    // 00000000AC74: D9FE4400 34000017
	v_mfma_f32_16x16x16_bf16 a[132:135], a[98:99], v[78:79], a[132:135]// 00000000AC7C: D3E18084 0E129D62
	v_mfma_f32_16x16x16_bf16 a[136:139], a[100:101], v[78:79], a[136:139]// 00000000AC84: D3E18088 0E229D64
	ds_read_b128 v[56:59], v23 offset:18560                    // 00000000AC8C: D9FE4880 38000017
	v_mfma_f32_16x16x16_bf16 a[140:143], a[102:103], v[78:79], a[140:143]// 00000000AC94: D3E1808C 0E329D66
	global_atomic_pk_add_bf16 v8, v157, s[32:33]               // 00000000AC9C: DD488000 00209D08
	v_mfma_f32_16x16x16_bf16 a[144:147], a[96:97], v[80:81], a[144:147]// 00000000ACA4: D3E18090 0E42A160
	ds_read_b128 v[60:63], v23 offset:19712                    // 00000000ACAC: D9FE4D00 3C000017
	v_mfma_f32_16x16x16_bf16 a[148:151], a[98:99], v[80:81], a[148:151]// 00000000ACB4: D3E18094 0E52A162
	v_mfma_f32_16x16x16_bf16 a[152:155], a[100:101], v[80:81], a[152:155]// 00000000ACBC: D3E18098 0E62A164
	ds_read_b128 v[64:67], v23 offset:20864                    // 00000000ACC4: D9FE5180 40000017
	v_mfma_f32_16x16x16_bf16 a[156:159], a[102:103], v[80:81], a[156:159]// 00000000ACCC: D3E1809C 0E72A166
	v_mfma_f32_16x16x16_bf16 a[112:115], a[104:105], v[82:83], a[112:115]// 00000000ACD4: D3E18070 0DC2A568
	ds_read_b128 v[68:71], v23 offset:22016                    // 00000000ACDC: D9FE5600 44000017
	v_mfma_f32_16x16x16_bf16 a[116:119], a[106:107], v[82:83], a[116:119]// 00000000ACE4: D3E18074 0DD2A56A
	global_atomic_pk_add_bf16 v10, v158, s[32:33]              // 00000000ACEC: DD488000 00209E0A
	v_mfma_f32_16x16x16_bf16 a[120:123], a[108:109], v[82:83], a[120:123]// 00000000ACF4: D3E18078 0DE2A56C
	ds_read_b128 v[72:75], v23 offset:23168                    // 00000000ACFC: D9FE5A80 48000017
	v_mfma_f32_16x16x16_bf16 a[124:127], a[110:111], v[82:83], a[124:127]// 00000000AD04: D3E1807C 0DF2A56E
	v_mfma_f32_16x16x16_bf16 a[128:131], a[104:105], v[84:85], a[128:131]// 00000000AD0C: D3E18080 0E02A968
	ds_write_b32 v19, v104 offset:13056                        // 00000000AD14: D81A3300 00006813
	v_mfma_f32_16x16x16_bf16 a[132:135], a[106:107], v[84:85], a[132:135]// 00000000AD1C: D3E18084 0E12A96A
	v_mfma_f32_16x16x16_bf16 a[136:139], a[108:109], v[84:85], a[136:139]// 00000000AD24: D3E18088 0E22A96C
	ds_write_b32 v19, v105 offset:14112                        // 00000000AD2C: D81A3720 00006913
	v_mfma_f32_16x16x16_bf16 a[140:143], a[110:111], v[84:85], a[140:143]// 00000000AD34: D3E1808C 0E32A96E
	global_atomic_pk_add_bf16 v12, v159, s[32:33]              // 00000000AD3C: DD488000 00209F0C
	v_mfma_f32_16x16x16_bf16 a[144:147], a[104:105], v[86:87], a[144:147]// 00000000AD44: D3E18090 0E42AD68
	ds_write_b32 v19, v106 offset:15232                        // 00000000AD4C: D81A3B80 00006A13
	v_mfma_f32_16x16x16_bf16 a[148:151], a[106:107], v[86:87], a[148:151]// 00000000AD54: D3E18094 0E52AD6A
	v_mfma_f32_16x16x16_bf16 a[152:155], a[108:109], v[86:87], a[152:155]// 00000000AD5C: D3E18098 0E62AD6C
	ds_write_b32 v19, v107 offset:16288                        // 00000000AD64: D81A3FA0 00006B13
	v_mfma_f32_16x16x16_bf16 a[156:159], a[110:111], v[86:87], a[156:159]// 00000000AD6C: D3E1809C 0E72AD6E
	s_waitcnt vmcnt(4) lgkmcnt(4)                              // 00000000AD74: BF8C0474
	s_barrier                                                  // 00000000AD78: BF8A0000
	v_mfma_f32_16x16x16_bf16 v[148:151], a[24:25], v[52:53], 0 // 00000000AD7C: D3E10094 0A026918
	ds_read_b128 a[96:99], v16                                 // 00000000AD84: DBFE0000 60000010
	buffer_load_dword v36, v1, s[8:11], 0 idxen                // 00000000AD8C: E0502000 80022401
	v_mfma_f32_16x16x16_bf16 v[148:151], a[28:29], v[54:55], v[148:151]// 00000000AD94: D3E10094 0E526D1C
	v_mul_f32_e32 v140, s49, v140                              // 00000000AD9C: 0B191831
	v_mul_f32_e32 v144, s49, v144                              // 00000000ADA0: 0B212031
	s_nop 0                                                    // 00000000ADA4: BF800000
	v_mfma_f32_16x16x16_bf16 v[148:151], a[32:33], v[56:57], v[148:151]// 00000000ADA8: D3E10094 0E527120
	ds_read_b128 a[100:103], v16 offset:512                    // 00000000ADB0: DBFE0200 64000010
	buffer_load_dword v37, v2, s[8:11], 0 idxen                // 00000000ADB8: E0502000 80022502
	v_mfma_f32_16x16x16_bf16 v[148:151], a[36:37], v[58:59], v[148:151]// 00000000ADC0: D3E10094 0E527524
	v_mfma_f32_16x16x16_bf16 v[148:151], a[40:41], v[60:61], v[148:151]// 00000000ADC8: D3E10094 0E527928
	ds_read_b128 a[104:107], v16 offset:2176                   // 00000000ADD0: DBFE0880 68000010
	buffer_load_dword v38, v3, s[8:11], 0 idxen                // 00000000ADD8: E0502000 80022603
	v_mfma_f32_16x16x16_bf16 v[148:151], a[44:45], v[62:63], v[148:151]// 00000000ADE0: D3E10094 0E527D2C
	v_perm_b32 v100, v41, v40, s63                             // 00000000ADE8: D1ED0064 00FE5129
	v_perm_b32 v101, v41, v40, s64                             // 00000000ADF0: D1ED0065 01025129
	v_mfma_f32_16x16x16_bf16 v[148:151], a[48:49], v[64:65], v[148:151]// 00000000ADF8: D3E10094 0E528130
	ds_read_b128 a[108:111], v16 offset:2688                   // 00000000AE00: DBFE0A80 6C000010
	buffer_load_dword v39, v4, s[8:11], 0 idxen                // 00000000AE08: E0502000 80022704
	v_mfma_f32_16x16x16_bf16 v[148:151], a[52:53], v[66:67], v[148:151]// 00000000AE10: D3E10094 0E528534
	v_perm_b32 v102, v43, v42, s63                             // 00000000AE18: D1ED0066 00FE552B
	v_perm_b32 v103, v43, v42, s64                             // 00000000AE20: D1ED0067 0102552B
	v_mfma_f32_16x16x16_bf16 v[148:151], a[56:57], v[68:69], v[148:151]// 00000000AE28: D3E10094 0E528938
	ds_read_b128 v[108:111], v16 offset:8704                   // 00000000AE30: D9FE2200 6C000010
	buffer_load_dword v44, v1, s[20:23], 0 idxen               // 00000000AE38: E0502000 80052C01
	v_mfma_f32_16x16x16_bf16 v[148:151], a[60:61], v[70:71], v[148:151]// 00000000AE40: D3E10094 0E528D3C
	v_perm_b32 v104, v49, v48, s63                             // 00000000AE48: D1ED0068 00FE6131
	v_perm_b32 v105, v49, v48, s64                             // 00000000AE50: D1ED0069 01026131
	v_mfma_f32_16x16x16_bf16 v[148:151], a[64:65], v[72:73], v[148:151]// 00000000AE58: D3E10094 0E529140
	ds_read_b128 v[112:115], v16 offset:9216                   // 00000000AE60: D9FE2400 70000010
	buffer_load_dword v45, v2, s[20:23], 0 idxen               // 00000000AE68: E0502000 80052D02
	v_mfma_f32_16x16x16_bf16 v[148:151], a[68:69], v[74:75], v[148:151]// 00000000AE70: D3E10094 0E529544
	v_perm_b32 v106, v51, v50, s63                             // 00000000AE78: D1ED006A 00FE6533
	v_perm_b32 v107, v51, v50, s64                             // 00000000AE80: D1ED006B 01026533
	v_mfma_f32_16x16x16_bf16 v[152:155], a[26:27], v[52:53], 0 // 00000000AE88: D3E10098 0A02691A
	ds_read_b128 v[116:119], v16 offset:10880                  // 00000000AE90: D9FE2A80 74000010
	buffer_load_dword v46, v3, s[20:23], 0 idxen               // 00000000AE98: E0502000 80052E03
	v_mfma_f32_16x16x16_bf16 v[152:155], a[30:31], v[54:55], v[152:155]// 00000000AEA0: D3E10098 0E626D1E
	v_mov_b32_dpp v143, v140 quad_perm:[3,3,3,3] row_mask:0xf bank_mask:0xf// 00000000AEA8: 7F1E02FA FF00FF8C
	v_mov_b32_dpp v142, v140 quad_perm:[2,2,2,2] row_mask:0xf bank_mask:0xf// 00000000AEB0: 7F1C02FA FF00AA8C
	v_mov_b32_dpp v141, v140 quad_perm:[1,1,1,1] row_mask:0xf bank_mask:0xf// 00000000AEB8: 7F1A02FA FF00558C
	v_mov_b32_dpp v140, v140 quad_perm:[0,0,0,0] row_mask:0xf bank_mask:0xf// 00000000AEC0: 7F1802FA FF00008C
	v_mfma_f32_16x16x16_bf16 v[152:155], a[34:35], v[56:57], v[152:155]// 00000000AEC8: D3E10098 0E627122
	ds_read_b128 v[120:123], v16 offset:11392                  // 00000000AED0: D9FE2C80 78000010
	buffer_load_dword v47, v4, s[20:23], 0 idxen               // 00000000AED8: E0502000 80052F04
	v_mfma_f32_16x16x16_bf16 v[152:155], a[38:39], v[58:59], v[152:155]// 00000000AEE0: D3E10098 0E627526
	v_mov_b32_dpp v147, v144 quad_perm:[3,3,3,3] row_mask:0xf bank_mask:0xf// 00000000AEE8: 7F2602FA FF00FF90
	v_mov_b32_dpp v146, v144 quad_perm:[2,2,2,2] row_mask:0xf bank_mask:0xf// 00000000AEF0: 7F2402FA FF00AA90
	v_mov_b32_dpp v145, v144 quad_perm:[1,1,1,1] row_mask:0xf bank_mask:0xf// 00000000AEF8: 7F2202FA FF005590
	v_mov_b32_dpp v144, v144 quad_perm:[0,0,0,0] row_mask:0xf bank_mask:0xf// 00000000AF00: 7F2002FA FF000090
	s_add_u32 s60, 0x80, s59                                   // 00000000AF08: 803C3BFF 00000080
	v_mfma_f32_16x16x16_bf16 v[152:155], a[42:43], v[60:61], v[152:155]// 00000000AF10: D3E10098 0E62792A
	buffer_load_dword v15, s[24:27], 0 idxen lds               // 00000000AF18: E0512000 8006000F
	v_mfma_f32_16x16x16_bf16 v[152:155], a[46:47], v[62:63], v[152:155]// 00000000AF20: D3E10098 0E627D2E
	s_cmp_lt_u32 s60, s58                                      // 00000000AF28: BF0A3A3C
	s_cselect_b32 s68, s68, 0                                  // 00000000AF2C: 85448044
	s_cselect_b32 s69, s69, 0                                  // 00000000AF30: 85458045
	v_mfma_f32_16x16x16_bf16 v[152:155], a[50:51], v[64:65], v[152:155]// 00000000AF34: D3E10098 0E628132
	s_add_u32 s8, s68, s8                                      // 00000000AF3C: 80080844
	s_addc_u32 s9, 0, s9                                       // 00000000AF40: 82090980
	v_mfma_f32_16x16x16_bf16 v[152:155], a[54:55], v[66:67], v[152:155]// 00000000AF44: D3E10098 0E628536
	s_add_u32 s20, s68, s20                                    // 00000000AF4C: 80141444
	s_addc_u32 s21, 0, s21                                     // 00000000AF50: 82151580
	v_mfma_f32_16x16x16_bf16 v[152:155], a[58:59], v[68:69], v[152:155]// 00000000AF54: D3E10098 0E62893A
	s_mov_b32 m0, s81                                          // 00000000AF5C: BEFC0051
	v_add_u32_e32 v15, s69, v15                                // 00000000AF60: 681E1E45
	v_mfma_f32_16x16x16_bf16 v[152:155], a[62:63], v[70:71], v[152:155]// 00000000AF64: D3E10098 0E628D3E
	s_cmp_ge_u32 s59, s73                                      // 00000000AF6C: BF09493B
	s_cselect_b32 s66, s67, s66                                // 00000000AF70: 85424243
	v_mfma_f32_16x16x16_bf16 v[152:155], a[66:67], v[72:73], v[152:155]// 00000000AF74: D3E10098 0E629142
	s_addk_i32 s59, 0x20                                       // 00000000AF7C: B73B0020
	s_nop 0                                                    // 00000000AF80: BF800000
	s_cmp_lt_i32 s59, s58                                      // 00000000AF84: BF043A3B
	v_mfma_f32_16x16x16_bf16 v[152:155], a[70:71], v[74:75], v[152:155]// 00000000AF88: D3E10098 0E629546
	s_cbranch_scc0 label_10CC                                  // 00000000AF90: BF84F4E7
	s_branch label_10CF                                        // 00000000AF94: BF82F4E9

000000000000af98 <label_1BE6>:
	s_add_u32 s32, s66, s32                                    // 00000000AF98: 80202042
	s_addc_u32 s33, 0, s33                                     // 00000000AF9C: 82212180
	v_lshrrev_b32_e32 v32, 5, v0                               // 00000000AFA0: 20400085
	v_mul_i32_i24_e32 v31, 0x44, v32                           // 00000000AFA4: 0C3E40FF 00000044
	v_and_b32_e32 v32, 31, v0                                  // 00000000AFAC: 2640009F
	v_mul_i32_i24_e32 v33, 2, v32                              // 00000000AFB0: 0C424082
	v_add_u32_e32 v31, v33, v31                                // 00000000AFB4: 683E3F21
	s_mul_i32 s60, s47, 0x220                                  // 00000000AFB8: 923CFF2F 00000220
	v_add_u32_e32 v31, s60, v31                                // 00000000AFC0: 683E3E3C
	v_lshlrev_b32_e32 v31, 2, v31                              // 00000000AFC4: 243E3E82
	v_mul_f32_e32 v148, s48, v148                              // 00000000AFC8: 0B292830
	v_mul_f32_e32 v149, s48, v149                              // 00000000AFCC: 0B2B2A30
	v_mul_f32_e32 v150, s48, v150                              // 00000000AFD0: 0B2D2C30
	v_mul_f32_e32 v151, s48, v151                              // 00000000AFD4: 0B2F2E30
	v_mul_f32_e32 v152, s48, v152                              // 00000000AFD8: 0B313030
	v_mul_f32_e32 v153, s48, v153                              // 00000000AFDC: 0B333230
	v_mul_f32_e32 v154, s48, v154                              // 00000000AFE0: 0B353430
	v_mul_f32_e32 v155, s48, v155                              // 00000000AFE4: 0B373630
	v_cmp_u_f32_e64 s[78:79], v148, v148                       // 00000000AFE8: D048004E 00032994
	v_bfe_u32 v228, v148, 16, 1                                // 00000000AFF0: D1C800E4 02052194
	v_add3_u32 v228, v148, v228, v231                          // 00000000AFF8: D1FF00E4 079FC994
	v_cndmask_b32_e64 v32, v228, v230, s[78:79]                // 00000000B000: D1000020 013BCDE4
	v_lshrrev_b32_e32 v32, 16, v32                             // 00000000B008: 20404090
	v_cmp_u_f32_e64 s[78:79], v149, v149                       // 00000000B00C: D048004E 00032B95
	v_bfe_u32 v228, v149, 16, 1                                // 00000000B014: D1C800E4 02052195
	v_add3_u32 v228, v149, v228, v231                          // 00000000B01C: D1FF00E4 079FC995
	v_cndmask_b32_e64 v33, v228, v230, s[78:79]                // 00000000B024: D1000021 013BCDE4
	v_and_or_b32 v148, v33, v229, v32                          // 00000000B02C: D2010094 0483CB21
	v_cmp_u_f32_e64 s[78:79], v150, v150                       // 00000000B034: D048004E 00032D96
	v_bfe_u32 v228, v150, 16, 1                                // 00000000B03C: D1C800E4 02052196
	v_add3_u32 v228, v150, v228, v231                          // 00000000B044: D1FF00E4 079FC996
	v_cndmask_b32_e64 v32, v228, v230, s[78:79]                // 00000000B04C: D1000020 013BCDE4
	v_lshrrev_b32_e32 v32, 16, v32                             // 00000000B054: 20404090
	v_cmp_u_f32_e64 s[78:79], v151, v151                       // 00000000B058: D048004E 00032F97
	v_bfe_u32 v228, v151, 16, 1                                // 00000000B060: D1C800E4 02052197
	v_add3_u32 v228, v151, v228, v231                          // 00000000B068: D1FF00E4 079FC997
	v_cndmask_b32_e64 v33, v228, v230, s[78:79]                // 00000000B070: D1000021 013BCDE4
	v_and_or_b32 v149, v33, v229, v32                          // 00000000B078: D2010095 0483CB21
	v_cmp_u_f32_e64 s[78:79], v152, v152                       // 00000000B080: D048004E 00033198
	v_bfe_u32 v228, v152, 16, 1                                // 00000000B088: D1C800E4 02052198
	v_add3_u32 v228, v152, v228, v231                          // 00000000B090: D1FF00E4 079FC998
	v_cndmask_b32_e64 v32, v228, v230, s[78:79]                // 00000000B098: D1000020 013BCDE4
	v_lshrrev_b32_e32 v32, 16, v32                             // 00000000B0A0: 20404090
	v_cmp_u_f32_e64 s[78:79], v153, v153                       // 00000000B0A4: D048004E 00033399
	v_bfe_u32 v228, v153, 16, 1                                // 00000000B0AC: D1C800E4 02052199
	v_add3_u32 v228, v153, v228, v231                          // 00000000B0B4: D1FF00E4 079FC999
	v_cndmask_b32_e64 v33, v228, v230, s[78:79]                // 00000000B0BC: D1000021 013BCDE4
	v_and_or_b32 v150, v33, v229, v32                          // 00000000B0C4: D2010096 0483CB21
	v_cmp_u_f32_e64 s[78:79], v154, v154                       // 00000000B0CC: D048004E 0003359A
	v_bfe_u32 v228, v154, 16, 1                                // 00000000B0D4: D1C800E4 0205219A
	v_add3_u32 v228, v154, v228, v231                          // 00000000B0DC: D1FF00E4 079FC99A
	v_cndmask_b32_e64 v32, v228, v230, s[78:79]                // 00000000B0E4: D1000020 013BCDE4
	v_lshrrev_b32_e32 v32, 16, v32                             // 00000000B0EC: 20404090
	v_cmp_u_f32_e64 s[78:79], v155, v155                       // 00000000B0F0: D048004E 0003379B
	v_bfe_u32 v228, v155, 16, 1                                // 00000000B0F8: D1C800E4 0205219B
	v_add3_u32 v228, v155, v228, v231                          // 00000000B100: D1FF00E4 079FC99B
	v_cndmask_b32_e64 v33, v228, v230, s[78:79]                // 00000000B108: D1000021 013BCDE4
	v_and_or_b32 v151, v33, v229, v32                          // 00000000B110: D2010097 0483CB21
	ds_write_b64 v26, v[148:149] offset:31232                  // 00000000B118: D89A7A00 0000941A
	ds_write_b64 v26, v[150:151] offset:31776                  // 00000000B120: D89A7C20 0000961A
	s_waitcnt lgkmcnt(0)                                       // 00000000B128: BF8CC07F
	s_barrier                                                  // 00000000B12C: BF8A0000
	ds_read_b32 v156, v25 offset:31232                         // 00000000B130: D86C7A00 9C000019
	ds_read_b32 v157, v25 offset:31248                         // 00000000B138: D86C7A10 9D000019
	ds_read_b32 v158, v25 offset:31264                         // 00000000B140: D86C7A20 9E000019
	ds_read_b32 v159, v25 offset:31280                         // 00000000B148: D86C7A30 9F000019
	s_waitcnt lgkmcnt(0)                                       // 00000000B150: BF8CC07F
	s_barrier                                                  // 00000000B154: BF8A0000
	global_atomic_pk_add_bf16 v6, v156, s[32:33]               // 00000000B158: DD488000 00209C06
	global_atomic_pk_add_bf16 v8, v157, s[32:33]               // 00000000B160: DD488000 00209D08
	global_atomic_pk_add_bf16 v10, v158, s[32:33]              // 00000000B168: DD488000 00209E0A
	global_atomic_pk_add_bf16 v12, v159, s[32:33]              // 00000000B170: DD488000 00209F0C
	v_lshrrev_b32_e32 v32, 3, v0                               // 00000000B178: 20400083
	v_mul_i32_i24_e32 v30, 2, v32                              // 00000000B17C: 0C3C4082
	v_and_b32_e32 v32, 7, v0                                   // 00000000B180: 26400087
	v_mul_i32_i24_e32 v33, 0x44, v32                           // 00000000B184: 0C4240FF 00000044
	v_add_u32_e32 v30, v33, v30                                // 00000000B18C: 683C3D21
	s_mul_i32 s60, s47, 0x220                                  // 00000000B190: 923CFF2F 00000220
	v_add_u32_e32 v30, s60, v30                                // 00000000B198: 683C3C3C
	v_lshlrev_b32_e32 v30, 2, v30                              // 00000000B19C: 243C3C82
	v_accvgpr_read_b32 v34, a112                               // 00000000B1A0: D3D84022 18000170
	v_accvgpr_read_b32 v35, a113                               // 00000000B1A8: D3D84023 18000171
	v_mul_f32_e32 v34, s48, v34                                // 00000000B1B0: 0A444430
	v_mul_f32_e32 v35, s48, v35                                // 00000000B1B4: 0A464630
	v_cmp_u_f32_e64 s[78:79], v34, v34                         // 00000000B1B8: D048004E 00024522
	v_bfe_u32 v228, v34, 16, 1                                 // 00000000B1C0: D1C800E4 02052122
	v_add3_u32 v228, v34, v228, v231                           // 00000000B1C8: D1FF00E4 079FC922
	v_cndmask_b32_e64 v32, v228, v230, s[78:79]                // 00000000B1D0: D1000020 013BCDE4
	v_lshrrev_b32_e32 v32, 16, v32                             // 00000000B1D8: 20404090
	v_cmp_u_f32_e64 s[78:79], v35, v35                         // 00000000B1DC: D048004E 00024723
	v_bfe_u32 v228, v35, 16, 1                                 // 00000000B1E4: D1C800E4 02052123
	v_add3_u32 v228, v35, v228, v231                           // 00000000B1EC: D1FF00E4 079FC923
	v_cndmask_b32_e64 v33, v228, v230, s[78:79]                // 00000000B1F4: D1000021 013BCDE4
	v_and_or_b32 v52, v33, v229, v32                           // 00000000B1FC: D2010034 0483CB21
	v_accvgpr_read_b32 v34, a114                               // 00000000B204: D3D84022 18000172
	v_accvgpr_read_b32 v35, a115                               // 00000000B20C: D3D84023 18000173
	v_mul_f32_e32 v34, s48, v34                                // 00000000B214: 0A444430
	v_mul_f32_e32 v35, s48, v35                                // 00000000B218: 0A464630
	v_cmp_u_f32_e64 s[78:79], v34, v34                         // 00000000B21C: D048004E 00024522
	v_bfe_u32 v228, v34, 16, 1                                 // 00000000B224: D1C800E4 02052122
	v_add3_u32 v228, v34, v228, v231                           // 00000000B22C: D1FF00E4 079FC922
	v_cndmask_b32_e64 v32, v228, v230, s[78:79]                // 00000000B234: D1000020 013BCDE4
	v_lshrrev_b32_e32 v32, 16, v32                             // 00000000B23C: 20404090
	v_cmp_u_f32_e64 s[78:79], v35, v35                         // 00000000B240: D048004E 00024723
	v_bfe_u32 v228, v35, 16, 1                                 // 00000000B248: D1C800E4 02052123
	v_add3_u32 v228, v35, v228, v231                           // 00000000B250: D1FF00E4 079FC923
	v_cndmask_b32_e64 v33, v228, v230, s[78:79]                // 00000000B258: D1000021 013BCDE4
	v_and_or_b32 v53, v33, v229, v32                           // 00000000B260: D2010035 0483CB21
	v_accvgpr_read_b32 v34, a116                               // 00000000B268: D3D84022 18000174
	v_accvgpr_read_b32 v35, a117                               // 00000000B270: D3D84023 18000175
	v_mul_f32_e32 v34, s48, v34                                // 00000000B278: 0A444430
	v_mul_f32_e32 v35, s48, v35                                // 00000000B27C: 0A464630
	v_cmp_u_f32_e64 s[78:79], v34, v34                         // 00000000B280: D048004E 00024522
	v_bfe_u32 v228, v34, 16, 1                                 // 00000000B288: D1C800E4 02052122
	v_add3_u32 v228, v34, v228, v231                           // 00000000B290: D1FF00E4 079FC922
	v_cndmask_b32_e64 v32, v228, v230, s[78:79]                // 00000000B298: D1000020 013BCDE4
	v_lshrrev_b32_e32 v32, 16, v32                             // 00000000B2A0: 20404090
	v_cmp_u_f32_e64 s[78:79], v35, v35                         // 00000000B2A4: D048004E 00024723
	v_bfe_u32 v228, v35, 16, 1                                 // 00000000B2AC: D1C800E4 02052123
	v_add3_u32 v228, v35, v228, v231                           // 00000000B2B4: D1FF00E4 079FC923
	v_cndmask_b32_e64 v33, v228, v230, s[78:79]                // 00000000B2BC: D1000021 013BCDE4
	v_and_or_b32 v54, v33, v229, v32                           // 00000000B2C4: D2010036 0483CB21
	v_accvgpr_read_b32 v34, a118                               // 00000000B2CC: D3D84022 18000176
	v_accvgpr_read_b32 v35, a119                               // 00000000B2D4: D3D84023 18000177
	v_mul_f32_e32 v34, s48, v34                                // 00000000B2DC: 0A444430
	v_mul_f32_e32 v35, s48, v35                                // 00000000B2E0: 0A464630
	v_cmp_u_f32_e64 s[78:79], v34, v34                         // 00000000B2E4: D048004E 00024522
	v_bfe_u32 v228, v34, 16, 1                                 // 00000000B2EC: D1C800E4 02052122
	v_add3_u32 v228, v34, v228, v231                           // 00000000B2F4: D1FF00E4 079FC922
	v_cndmask_b32_e64 v32, v228, v230, s[78:79]                // 00000000B2FC: D1000020 013BCDE4
	v_lshrrev_b32_e32 v32, 16, v32                             // 00000000B304: 20404090
	v_cmp_u_f32_e64 s[78:79], v35, v35                         // 00000000B308: D048004E 00024723
	v_bfe_u32 v228, v35, 16, 1                                 // 00000000B310: D1C800E4 02052123
	v_add3_u32 v228, v35, v228, v231                           // 00000000B318: D1FF00E4 079FC923
	v_cndmask_b32_e64 v33, v228, v230, s[78:79]                // 00000000B320: D1000021 013BCDE4
	v_and_or_b32 v55, v33, v229, v32                           // 00000000B328: D2010037 0483CB21
	v_accvgpr_read_b32 v34, a120                               // 00000000B330: D3D84022 18000178
	v_accvgpr_read_b32 v35, a121                               // 00000000B338: D3D84023 18000179
	v_mul_f32_e32 v34, s48, v34                                // 00000000B340: 0A444430
	v_mul_f32_e32 v35, s48, v35                                // 00000000B344: 0A464630
	v_cmp_u_f32_e64 s[78:79], v34, v34                         // 00000000B348: D048004E 00024522
	v_bfe_u32 v228, v34, 16, 1                                 // 00000000B350: D1C800E4 02052122
	v_add3_u32 v228, v34, v228, v231                           // 00000000B358: D1FF00E4 079FC922
	v_cndmask_b32_e64 v32, v228, v230, s[78:79]                // 00000000B360: D1000020 013BCDE4
	v_lshrrev_b32_e32 v32, 16, v32                             // 00000000B368: 20404090
	v_cmp_u_f32_e64 s[78:79], v35, v35                         // 00000000B36C: D048004E 00024723
	v_bfe_u32 v228, v35, 16, 1                                 // 00000000B374: D1C800E4 02052123
	v_add3_u32 v228, v35, v228, v231                           // 00000000B37C: D1FF00E4 079FC923
	v_cndmask_b32_e64 v33, v228, v230, s[78:79]                // 00000000B384: D1000021 013BCDE4
	v_and_or_b32 v56, v33, v229, v32                           // 00000000B38C: D2010038 0483CB21
	v_accvgpr_read_b32 v34, a122                               // 00000000B394: D3D84022 1800017A
	v_accvgpr_read_b32 v35, a123                               // 00000000B39C: D3D84023 1800017B
	v_mul_f32_e32 v34, s48, v34                                // 00000000B3A4: 0A444430
	v_mul_f32_e32 v35, s48, v35                                // 00000000B3A8: 0A464630
	v_cmp_u_f32_e64 s[78:79], v34, v34                         // 00000000B3AC: D048004E 00024522
	v_bfe_u32 v228, v34, 16, 1                                 // 00000000B3B4: D1C800E4 02052122
	v_add3_u32 v228, v34, v228, v231                           // 00000000B3BC: D1FF00E4 079FC922
	v_cndmask_b32_e64 v32, v228, v230, s[78:79]                // 00000000B3C4: D1000020 013BCDE4
	v_lshrrev_b32_e32 v32, 16, v32                             // 00000000B3CC: 20404090
	v_cmp_u_f32_e64 s[78:79], v35, v35                         // 00000000B3D0: D048004E 00024723
	v_bfe_u32 v228, v35, 16, 1                                 // 00000000B3D8: D1C800E4 02052123
	v_add3_u32 v228, v35, v228, v231                           // 00000000B3E0: D1FF00E4 079FC923
	v_cndmask_b32_e64 v33, v228, v230, s[78:79]                // 00000000B3E8: D1000021 013BCDE4
	v_and_or_b32 v57, v33, v229, v32                           // 00000000B3F0: D2010039 0483CB21
	v_accvgpr_read_b32 v34, a124                               // 00000000B3F8: D3D84022 1800017C
	v_accvgpr_read_b32 v35, a125                               // 00000000B400: D3D84023 1800017D
	v_mul_f32_e32 v34, s48, v34                                // 00000000B408: 0A444430
	v_mul_f32_e32 v35, s48, v35                                // 00000000B40C: 0A464630
	v_cmp_u_f32_e64 s[78:79], v34, v34                         // 00000000B410: D048004E 00024522
	v_bfe_u32 v228, v34, 16, 1                                 // 00000000B418: D1C800E4 02052122
	v_add3_u32 v228, v34, v228, v231                           // 00000000B420: D1FF00E4 079FC922
	v_cndmask_b32_e64 v32, v228, v230, s[78:79]                // 00000000B428: D1000020 013BCDE4
	v_lshrrev_b32_e32 v32, 16, v32                             // 00000000B430: 20404090
	v_cmp_u_f32_e64 s[78:79], v35, v35                         // 00000000B434: D048004E 00024723
	v_bfe_u32 v228, v35, 16, 1                                 // 00000000B43C: D1C800E4 02052123
	v_add3_u32 v228, v35, v228, v231                           // 00000000B444: D1FF00E4 079FC923
	v_cndmask_b32_e64 v33, v228, v230, s[78:79]                // 00000000B44C: D1000021 013BCDE4
	v_and_or_b32 v58, v33, v229, v32                           // 00000000B454: D201003A 0483CB21
	v_accvgpr_read_b32 v34, a126                               // 00000000B45C: D3D84022 1800017E
	v_accvgpr_read_b32 v35, a127                               // 00000000B464: D3D84023 1800017F
	v_mul_f32_e32 v34, s48, v34                                // 00000000B46C: 0A444430
	v_mul_f32_e32 v35, s48, v35                                // 00000000B470: 0A464630
	v_cmp_u_f32_e64 s[78:79], v34, v34                         // 00000000B474: D048004E 00024522
	v_bfe_u32 v228, v34, 16, 1                                 // 00000000B47C: D1C800E4 02052122
	v_add3_u32 v228, v34, v228, v231                           // 00000000B484: D1FF00E4 079FC922
	v_cndmask_b32_e64 v32, v228, v230, s[78:79]                // 00000000B48C: D1000020 013BCDE4
	v_lshrrev_b32_e32 v32, 16, v32                             // 00000000B494: 20404090
	v_cmp_u_f32_e64 s[78:79], v35, v35                         // 00000000B498: D048004E 00024723
	v_bfe_u32 v228, v35, 16, 1                                 // 00000000B4A0: D1C800E4 02052123
	v_add3_u32 v228, v35, v228, v231                           // 00000000B4A8: D1FF00E4 079FC923
	v_cndmask_b32_e64 v33, v228, v230, s[78:79]                // 00000000B4B0: D1000021 013BCDE4
	v_and_or_b32 v59, v33, v229, v32                           // 00000000B4B8: D201003B 0483CB21
	ds_write_b64 v31, v[52:53]                                 // 00000000B4C0: D89A0000 0000341F
	ds_write_b64 v31, v[54:55] offset:544                      // 00000000B4C8: D89A0220 0000361F
	ds_write_b64 v31, v[56:57] offset:1088                     // 00000000B4D0: D89A0440 0000381F
	ds_write_b64 v31, v[58:59] offset:1632                     // 00000000B4D8: D89A0660 00003A1F
	s_waitcnt lgkmcnt(0)                                       // 00000000B4E0: BF8CC07F
	s_barrier                                                  // 00000000B4E4: BF8A0000
	ds_read_b64 v[52:53], v30                                  // 00000000B4E8: D8EC0000 3400001E
	ds_read_b64 v[54:55], v30 offset:128                       // 00000000B4F0: D8EC0080 3600001E
	ds_read_b64 v[56:57], v30 offset:64                        // 00000000B4F8: D8EC0040 3800001E
	ds_read_b64 v[58:59], v30 offset:192                       // 00000000B500: D8EC00C0 3A00001E
	s_waitcnt lgkmcnt(0)                                       // 00000000B508: BF8CC07F
	buffer_store_dwordx4 v[52:55], v5, s[36:39], 0 idxen       // 00000000B50C: E07C2000 80093405
	s_mul_i32 s60, 2, s46                                      // 00000000B514: 923C2E82
	v_add_u32_e32 v5, s60, v5                                  // 00000000B518: 680A0A3C
	buffer_store_dwordx4 v[56:59], v5, s[36:39], 0 idxen       // 00000000B51C: E07C2000 80093805
	s_mul_i32 s60, 2, s46                                      // 00000000B524: 923C2E82
	v_add_u32_e32 v5, s60, v5                                  // 00000000B528: 680A0A3C
	s_mul_i32 s60, 12, s46                                     // 00000000B52C: 923C2E8C
	v_add_u32_e32 v5, s60, v5                                  // 00000000B530: 680A0A3C
	s_barrier                                                  // 00000000B534: BF8A0000
	s_cmp_ge_i32 1, s72                                        // 00000000B538: BF034881
	s_cbranch_scc1 label_1F20                                  // 00000000B53C: BF8501D0
	v_accvgpr_read_b32 v34, a128                               // 00000000B540: D3D84022 18000180
	v_accvgpr_read_b32 v35, a129                               // 00000000B548: D3D84023 18000181
	v_mul_f32_e32 v34, s48, v34                                // 00000000B550: 0A444430
	v_mul_f32_e32 v35, s48, v35                                // 00000000B554: 0A464630
	v_cmp_u_f32_e64 s[78:79], v34, v34                         // 00000000B558: D048004E 00024522
	v_bfe_u32 v228, v34, 16, 1                                 // 00000000B560: D1C800E4 02052122
	v_add3_u32 v228, v34, v228, v231                           // 00000000B568: D1FF00E4 079FC922
	v_cndmask_b32_e64 v32, v228, v230, s[78:79]                // 00000000B570: D1000020 013BCDE4
	v_lshrrev_b32_e32 v32, 16, v32                             // 00000000B578: 20404090
	v_cmp_u_f32_e64 s[78:79], v35, v35                         // 00000000B57C: D048004E 00024723
	v_bfe_u32 v228, v35, 16, 1                                 // 00000000B584: D1C800E4 02052123
	v_add3_u32 v228, v35, v228, v231                           // 00000000B58C: D1FF00E4 079FC923
	v_cndmask_b32_e64 v33, v228, v230, s[78:79]                // 00000000B594: D1000021 013BCDE4
	v_and_or_b32 v60, v33, v229, v32                           // 00000000B59C: D201003C 0483CB21
	v_accvgpr_read_b32 v34, a130                               // 00000000B5A4: D3D84022 18000182
	v_accvgpr_read_b32 v35, a131                               // 00000000B5AC: D3D84023 18000183
	v_mul_f32_e32 v34, s48, v34                                // 00000000B5B4: 0A444430
	v_mul_f32_e32 v35, s48, v35                                // 00000000B5B8: 0A464630
	v_cmp_u_f32_e64 s[78:79], v34, v34                         // 00000000B5BC: D048004E 00024522
	v_bfe_u32 v228, v34, 16, 1                                 // 00000000B5C4: D1C800E4 02052122
	v_add3_u32 v228, v34, v228, v231                           // 00000000B5CC: D1FF00E4 079FC922
	v_cndmask_b32_e64 v32, v228, v230, s[78:79]                // 00000000B5D4: D1000020 013BCDE4
	v_lshrrev_b32_e32 v32, 16, v32                             // 00000000B5DC: 20404090
	v_cmp_u_f32_e64 s[78:79], v35, v35                         // 00000000B5E0: D048004E 00024723
	v_bfe_u32 v228, v35, 16, 1                                 // 00000000B5E8: D1C800E4 02052123
	v_add3_u32 v228, v35, v228, v231                           // 00000000B5F0: D1FF00E4 079FC923
	v_cndmask_b32_e64 v33, v228, v230, s[78:79]                // 00000000B5F8: D1000021 013BCDE4
	v_and_or_b32 v61, v33, v229, v32                           // 00000000B600: D201003D 0483CB21
	v_accvgpr_read_b32 v34, a132                               // 00000000B608: D3D84022 18000184
	v_accvgpr_read_b32 v35, a133                               // 00000000B610: D3D84023 18000185
	v_mul_f32_e32 v34, s48, v34                                // 00000000B618: 0A444430
	v_mul_f32_e32 v35, s48, v35                                // 00000000B61C: 0A464630
	v_cmp_u_f32_e64 s[78:79], v34, v34                         // 00000000B620: D048004E 00024522
	v_bfe_u32 v228, v34, 16, 1                                 // 00000000B628: D1C800E4 02052122
	v_add3_u32 v228, v34, v228, v231                           // 00000000B630: D1FF00E4 079FC922
	v_cndmask_b32_e64 v32, v228, v230, s[78:79]                // 00000000B638: D1000020 013BCDE4
	v_lshrrev_b32_e32 v32, 16, v32                             // 00000000B640: 20404090
	v_cmp_u_f32_e64 s[78:79], v35, v35                         // 00000000B644: D048004E 00024723
	v_bfe_u32 v228, v35, 16, 1                                 // 00000000B64C: D1C800E4 02052123
	v_add3_u32 v228, v35, v228, v231                           // 00000000B654: D1FF00E4 079FC923
	v_cndmask_b32_e64 v33, v228, v230, s[78:79]                // 00000000B65C: D1000021 013BCDE4
	v_and_or_b32 v62, v33, v229, v32                           // 00000000B664: D201003E 0483CB21
	v_accvgpr_read_b32 v34, a134                               // 00000000B66C: D3D84022 18000186
	v_accvgpr_read_b32 v35, a135                               // 00000000B674: D3D84023 18000187
	v_mul_f32_e32 v34, s48, v34                                // 00000000B67C: 0A444430
	v_mul_f32_e32 v35, s48, v35                                // 00000000B680: 0A464630
	v_cmp_u_f32_e64 s[78:79], v34, v34                         // 00000000B684: D048004E 00024522
	v_bfe_u32 v228, v34, 16, 1                                 // 00000000B68C: D1C800E4 02052122
	v_add3_u32 v228, v34, v228, v231                           // 00000000B694: D1FF00E4 079FC922
	v_cndmask_b32_e64 v32, v228, v230, s[78:79]                // 00000000B69C: D1000020 013BCDE4
	v_lshrrev_b32_e32 v32, 16, v32                             // 00000000B6A4: 20404090
	v_cmp_u_f32_e64 s[78:79], v35, v35                         // 00000000B6A8: D048004E 00024723
	v_bfe_u32 v228, v35, 16, 1                                 // 00000000B6B0: D1C800E4 02052123
	v_add3_u32 v228, v35, v228, v231                           // 00000000B6B8: D1FF00E4 079FC923
	v_cndmask_b32_e64 v33, v228, v230, s[78:79]                // 00000000B6C0: D1000021 013BCDE4
	v_and_or_b32 v63, v33, v229, v32                           // 00000000B6C8: D201003F 0483CB21
	v_accvgpr_read_b32 v34, a136                               // 00000000B6D0: D3D84022 18000188
	v_accvgpr_read_b32 v35, a137                               // 00000000B6D8: D3D84023 18000189
	v_mul_f32_e32 v34, s48, v34                                // 00000000B6E0: 0A444430
	v_mul_f32_e32 v35, s48, v35                                // 00000000B6E4: 0A464630
	v_cmp_u_f32_e64 s[78:79], v34, v34                         // 00000000B6E8: D048004E 00024522
	v_bfe_u32 v228, v34, 16, 1                                 // 00000000B6F0: D1C800E4 02052122
	v_add3_u32 v228, v34, v228, v231                           // 00000000B6F8: D1FF00E4 079FC922
	v_cndmask_b32_e64 v32, v228, v230, s[78:79]                // 00000000B700: D1000020 013BCDE4
	v_lshrrev_b32_e32 v32, 16, v32                             // 00000000B708: 20404090
	v_cmp_u_f32_e64 s[78:79], v35, v35                         // 00000000B70C: D048004E 00024723
	v_bfe_u32 v228, v35, 16, 1                                 // 00000000B714: D1C800E4 02052123
	v_add3_u32 v228, v35, v228, v231                           // 00000000B71C: D1FF00E4 079FC923
	v_cndmask_b32_e64 v33, v228, v230, s[78:79]                // 00000000B724: D1000021 013BCDE4
	v_and_or_b32 v64, v33, v229, v32                           // 00000000B72C: D2010040 0483CB21
	v_accvgpr_read_b32 v34, a138                               // 00000000B734: D3D84022 1800018A
	v_accvgpr_read_b32 v35, a139                               // 00000000B73C: D3D84023 1800018B
	v_mul_f32_e32 v34, s48, v34                                // 00000000B744: 0A444430
	v_mul_f32_e32 v35, s48, v35                                // 00000000B748: 0A464630
	v_cmp_u_f32_e64 s[78:79], v34, v34                         // 00000000B74C: D048004E 00024522
	v_bfe_u32 v228, v34, 16, 1                                 // 00000000B754: D1C800E4 02052122
	v_add3_u32 v228, v34, v228, v231                           // 00000000B75C: D1FF00E4 079FC922
	v_cndmask_b32_e64 v32, v228, v230, s[78:79]                // 00000000B764: D1000020 013BCDE4
	v_lshrrev_b32_e32 v32, 16, v32                             // 00000000B76C: 20404090
	v_cmp_u_f32_e64 s[78:79], v35, v35                         // 00000000B770: D048004E 00024723
	v_bfe_u32 v228, v35, 16, 1                                 // 00000000B778: D1C800E4 02052123
	v_add3_u32 v228, v35, v228, v231                           // 00000000B780: D1FF00E4 079FC923
	v_cndmask_b32_e64 v33, v228, v230, s[78:79]                // 00000000B788: D1000021 013BCDE4
	v_and_or_b32 v65, v33, v229, v32                           // 00000000B790: D2010041 0483CB21
	v_accvgpr_read_b32 v34, a140                               // 00000000B798: D3D84022 1800018C
	v_accvgpr_read_b32 v35, a141                               // 00000000B7A0: D3D84023 1800018D
	v_mul_f32_e32 v34, s48, v34                                // 00000000B7A8: 0A444430
	v_mul_f32_e32 v35, s48, v35                                // 00000000B7AC: 0A464630
	v_cmp_u_f32_e64 s[78:79], v34, v34                         // 00000000B7B0: D048004E 00024522
	v_bfe_u32 v228, v34, 16, 1                                 // 00000000B7B8: D1C800E4 02052122
	v_add3_u32 v228, v34, v228, v231                           // 00000000B7C0: D1FF00E4 079FC922
	v_cndmask_b32_e64 v32, v228, v230, s[78:79]                // 00000000B7C8: D1000020 013BCDE4
	v_lshrrev_b32_e32 v32, 16, v32                             // 00000000B7D0: 20404090
	v_cmp_u_f32_e64 s[78:79], v35, v35                         // 00000000B7D4: D048004E 00024723
	v_bfe_u32 v228, v35, 16, 1                                 // 00000000B7DC: D1C800E4 02052123
	v_add3_u32 v228, v35, v228, v231                           // 00000000B7E4: D1FF00E4 079FC923
	v_cndmask_b32_e64 v33, v228, v230, s[78:79]                // 00000000B7EC: D1000021 013BCDE4
	v_and_or_b32 v66, v33, v229, v32                           // 00000000B7F4: D2010042 0483CB21
	v_accvgpr_read_b32 v34, a142                               // 00000000B7FC: D3D84022 1800018E
	v_accvgpr_read_b32 v35, a143                               // 00000000B804: D3D84023 1800018F
	v_mul_f32_e32 v34, s48, v34                                // 00000000B80C: 0A444430
	v_mul_f32_e32 v35, s48, v35                                // 00000000B810: 0A464630
	v_cmp_u_f32_e64 s[78:79], v34, v34                         // 00000000B814: D048004E 00024522
	v_bfe_u32 v228, v34, 16, 1                                 // 00000000B81C: D1C800E4 02052122
	v_add3_u32 v228, v34, v228, v231                           // 00000000B824: D1FF00E4 079FC922
	v_cndmask_b32_e64 v32, v228, v230, s[78:79]                // 00000000B82C: D1000020 013BCDE4
	v_lshrrev_b32_e32 v32, 16, v32                             // 00000000B834: 20404090
	v_cmp_u_f32_e64 s[78:79], v35, v35                         // 00000000B838: D048004E 00024723
	v_bfe_u32 v228, v35, 16, 1                                 // 00000000B840: D1C800E4 02052123
	v_add3_u32 v228, v35, v228, v231                           // 00000000B848: D1FF00E4 079FC923
	v_cndmask_b32_e64 v33, v228, v230, s[78:79]                // 00000000B850: D1000021 013BCDE4
	v_and_or_b32 v67, v33, v229, v32                           // 00000000B858: D2010043 0483CB21
	ds_write_b64 v31, v[60:61] offset:8704                     // 00000000B860: D89A2200 00003C1F
	ds_write_b64 v31, v[62:63] offset:9248                     // 00000000B868: D89A2420 00003E1F
	ds_write_b64 v31, v[64:65] offset:9792                     // 00000000B870: D89A2640 0000401F
	ds_write_b64 v31, v[66:67] offset:10336                    // 00000000B878: D89A2860 0000421F
	s_waitcnt lgkmcnt(0)                                       // 00000000B880: BF8CC07F
	s_barrier                                                  // 00000000B884: BF8A0000
	ds_read_b64 v[60:61], v30 offset:8704                      // 00000000B888: D8EC2200 3C00001E
	ds_read_b64 v[62:63], v30 offset:8832                      // 00000000B890: D8EC2280 3E00001E
	ds_read_b64 v[64:65], v30 offset:8768                      // 00000000B898: D8EC2240 4000001E
	ds_read_b64 v[66:67], v30 offset:8896                      // 00000000B8A0: D8EC22C0 4200001E
	s_waitcnt lgkmcnt(0)                                       // 00000000B8A8: BF8CC07F
	buffer_store_dwordx4 v[60:63], v5, s[36:39], 0 idxen       // 00000000B8AC: E07C2000 80093C05
	s_mul_i32 s60, 2, s46                                      // 00000000B8B4: 923C2E82
	v_add_u32_e32 v5, s60, v5                                  // 00000000B8B8: 680A0A3C
	buffer_store_dwordx4 v[64:67], v5, s[36:39], 0 idxen       // 00000000B8BC: E07C2000 80094005
	s_mul_i32 s60, 2, s46                                      // 00000000B8C4: 923C2E82
	v_add_u32_e32 v5, s60, v5                                  // 00000000B8C8: 680A0A3C
	s_mul_i32 s60, 12, s46                                     // 00000000B8CC: 923C2E8C
	v_add_u32_e32 v5, s60, v5                                  // 00000000B8D0: 680A0A3C
	s_barrier                                                  // 00000000B8D4: BF8A0000
	s_cmp_ge_i32 2, s72                                        // 00000000B8D8: BF034882
	s_cbranch_scc1 label_1F20                                  // 00000000B8DC: BF8500E8
	v_accvgpr_read_b32 v34, a144                               // 00000000B8E0: D3D84022 18000190
	v_accvgpr_read_b32 v35, a145                               // 00000000B8E8: D3D84023 18000191
	v_mul_f32_e32 v34, s48, v34                                // 00000000B8F0: 0A444430
	v_mul_f32_e32 v35, s48, v35                                // 00000000B8F4: 0A464630
	v_cmp_u_f32_e64 s[78:79], v34, v34                         // 00000000B8F8: D048004E 00024522
	v_bfe_u32 v228, v34, 16, 1                                 // 00000000B900: D1C800E4 02052122
	v_add3_u32 v228, v34, v228, v231                           // 00000000B908: D1FF00E4 079FC922
	v_cndmask_b32_e64 v32, v228, v230, s[78:79]                // 00000000B910: D1000020 013BCDE4
	v_lshrrev_b32_e32 v32, 16, v32                             // 00000000B918: 20404090
	v_cmp_u_f32_e64 s[78:79], v35, v35                         // 00000000B91C: D048004E 00024723
	v_bfe_u32 v228, v35, 16, 1                                 // 00000000B924: D1C800E4 02052123
	v_add3_u32 v228, v35, v228, v231                           // 00000000B92C: D1FF00E4 079FC923
	v_cndmask_b32_e64 v33, v228, v230, s[78:79]                // 00000000B934: D1000021 013BCDE4
	v_and_or_b32 v68, v33, v229, v32                           // 00000000B93C: D2010044 0483CB21
	v_accvgpr_read_b32 v34, a146                               // 00000000B944: D3D84022 18000192
	v_accvgpr_read_b32 v35, a147                               // 00000000B94C: D3D84023 18000193
	v_mul_f32_e32 v34, s48, v34                                // 00000000B954: 0A444430
	v_mul_f32_e32 v35, s48, v35                                // 00000000B958: 0A464630
	v_cmp_u_f32_e64 s[78:79], v34, v34                         // 00000000B95C: D048004E 00024522
	v_bfe_u32 v228, v34, 16, 1                                 // 00000000B964: D1C800E4 02052122
	v_add3_u32 v228, v34, v228, v231                           // 00000000B96C: D1FF00E4 079FC922
	v_cndmask_b32_e64 v32, v228, v230, s[78:79]                // 00000000B974: D1000020 013BCDE4
	v_lshrrev_b32_e32 v32, 16, v32                             // 00000000B97C: 20404090
	v_cmp_u_f32_e64 s[78:79], v35, v35                         // 00000000B980: D048004E 00024723
	v_bfe_u32 v228, v35, 16, 1                                 // 00000000B988: D1C800E4 02052123
	v_add3_u32 v228, v35, v228, v231                           // 00000000B990: D1FF00E4 079FC923
	v_cndmask_b32_e64 v33, v228, v230, s[78:79]                // 00000000B998: D1000021 013BCDE4
	v_and_or_b32 v69, v33, v229, v32                           // 00000000B9A0: D2010045 0483CB21
	v_accvgpr_read_b32 v34, a148                               // 00000000B9A8: D3D84022 18000194
	v_accvgpr_read_b32 v35, a149                               // 00000000B9B0: D3D84023 18000195
	v_mul_f32_e32 v34, s48, v34                                // 00000000B9B8: 0A444430
	v_mul_f32_e32 v35, s48, v35                                // 00000000B9BC: 0A464630
	v_cmp_u_f32_e64 s[78:79], v34, v34                         // 00000000B9C0: D048004E 00024522
	v_bfe_u32 v228, v34, 16, 1                                 // 00000000B9C8: D1C800E4 02052122
	v_add3_u32 v228, v34, v228, v231                           // 00000000B9D0: D1FF00E4 079FC922
	v_cndmask_b32_e64 v32, v228, v230, s[78:79]                // 00000000B9D8: D1000020 013BCDE4
	v_lshrrev_b32_e32 v32, 16, v32                             // 00000000B9E0: 20404090
	v_cmp_u_f32_e64 s[78:79], v35, v35                         // 00000000B9E4: D048004E 00024723
	v_bfe_u32 v228, v35, 16, 1                                 // 00000000B9EC: D1C800E4 02052123
	v_add3_u32 v228, v35, v228, v231                           // 00000000B9F4: D1FF00E4 079FC923
	v_cndmask_b32_e64 v33, v228, v230, s[78:79]                // 00000000B9FC: D1000021 013BCDE4
	v_and_or_b32 v70, v33, v229, v32                           // 00000000BA04: D2010046 0483CB21
	v_accvgpr_read_b32 v34, a150                               // 00000000BA0C: D3D84022 18000196
	v_accvgpr_read_b32 v35, a151                               // 00000000BA14: D3D84023 18000197
	v_mul_f32_e32 v34, s48, v34                                // 00000000BA1C: 0A444430
	v_mul_f32_e32 v35, s48, v35                                // 00000000BA20: 0A464630
	v_cmp_u_f32_e64 s[78:79], v34, v34                         // 00000000BA24: D048004E 00024522
	v_bfe_u32 v228, v34, 16, 1                                 // 00000000BA2C: D1C800E4 02052122
	v_add3_u32 v228, v34, v228, v231                           // 00000000BA34: D1FF00E4 079FC922
	v_cndmask_b32_e64 v32, v228, v230, s[78:79]                // 00000000BA3C: D1000020 013BCDE4
	v_lshrrev_b32_e32 v32, 16, v32                             // 00000000BA44: 20404090
	v_cmp_u_f32_e64 s[78:79], v35, v35                         // 00000000BA48: D048004E 00024723
	v_bfe_u32 v228, v35, 16, 1                                 // 00000000BA50: D1C800E4 02052123
	v_add3_u32 v228, v35, v228, v231                           // 00000000BA58: D1FF00E4 079FC923
	v_cndmask_b32_e64 v33, v228, v230, s[78:79]                // 00000000BA60: D1000021 013BCDE4
	v_and_or_b32 v71, v33, v229, v32                           // 00000000BA68: D2010047 0483CB21
	v_accvgpr_read_b32 v34, a152                               // 00000000BA70: D3D84022 18000198
	v_accvgpr_read_b32 v35, a153                               // 00000000BA78: D3D84023 18000199
	v_mul_f32_e32 v34, s48, v34                                // 00000000BA80: 0A444430
	v_mul_f32_e32 v35, s48, v35                                // 00000000BA84: 0A464630
	v_cmp_u_f32_e64 s[78:79], v34, v34                         // 00000000BA88: D048004E 00024522
	v_bfe_u32 v228, v34, 16, 1                                 // 00000000BA90: D1C800E4 02052122
	v_add3_u32 v228, v34, v228, v231                           // 00000000BA98: D1FF00E4 079FC922
	v_cndmask_b32_e64 v32, v228, v230, s[78:79]                // 00000000BAA0: D1000020 013BCDE4
	v_lshrrev_b32_e32 v32, 16, v32                             // 00000000BAA8: 20404090
	v_cmp_u_f32_e64 s[78:79], v35, v35                         // 00000000BAAC: D048004E 00024723
	v_bfe_u32 v228, v35, 16, 1                                 // 00000000BAB4: D1C800E4 02052123
	v_add3_u32 v228, v35, v228, v231                           // 00000000BABC: D1FF00E4 079FC923
	v_cndmask_b32_e64 v33, v228, v230, s[78:79]                // 00000000BAC4: D1000021 013BCDE4
	v_and_or_b32 v72, v33, v229, v32                           // 00000000BACC: D2010048 0483CB21
	v_accvgpr_read_b32 v34, a154                               // 00000000BAD4: D3D84022 1800019A
	v_accvgpr_read_b32 v35, a155                               // 00000000BADC: D3D84023 1800019B
	v_mul_f32_e32 v34, s48, v34                                // 00000000BAE4: 0A444430
	v_mul_f32_e32 v35, s48, v35                                // 00000000BAE8: 0A464630
	v_cmp_u_f32_e64 s[78:79], v34, v34                         // 00000000BAEC: D048004E 00024522
	v_bfe_u32 v228, v34, 16, 1                                 // 00000000BAF4: D1C800E4 02052122
	v_add3_u32 v228, v34, v228, v231                           // 00000000BAFC: D1FF00E4 079FC922
	v_cndmask_b32_e64 v32, v228, v230, s[78:79]                // 00000000BB04: D1000020 013BCDE4
	v_lshrrev_b32_e32 v32, 16, v32                             // 00000000BB0C: 20404090
	v_cmp_u_f32_e64 s[78:79], v35, v35                         // 00000000BB10: D048004E 00024723
	v_bfe_u32 v228, v35, 16, 1                                 // 00000000BB18: D1C800E4 02052123
	v_add3_u32 v228, v35, v228, v231                           // 00000000BB20: D1FF00E4 079FC923
	v_cndmask_b32_e64 v33, v228, v230, s[78:79]                // 00000000BB28: D1000021 013BCDE4
	v_and_or_b32 v73, v33, v229, v32                           // 00000000BB30: D2010049 0483CB21
	v_accvgpr_read_b32 v34, a156                               // 00000000BB38: D3D84022 1800019C
	v_accvgpr_read_b32 v35, a157                               // 00000000BB40: D3D84023 1800019D
	v_mul_f32_e32 v34, s48, v34                                // 00000000BB48: 0A444430
	v_mul_f32_e32 v35, s48, v35                                // 00000000BB4C: 0A464630
	v_cmp_u_f32_e64 s[78:79], v34, v34                         // 00000000BB50: D048004E 00024522
	v_bfe_u32 v228, v34, 16, 1                                 // 00000000BB58: D1C800E4 02052122
	v_add3_u32 v228, v34, v228, v231                           // 00000000BB60: D1FF00E4 079FC922
	v_cndmask_b32_e64 v32, v228, v230, s[78:79]                // 00000000BB68: D1000020 013BCDE4
	v_lshrrev_b32_e32 v32, 16, v32                             // 00000000BB70: 20404090
	v_cmp_u_f32_e64 s[78:79], v35, v35                         // 00000000BB74: D048004E 00024723
	v_bfe_u32 v228, v35, 16, 1                                 // 00000000BB7C: D1C800E4 02052123
	v_add3_u32 v228, v35, v228, v231                           // 00000000BB84: D1FF00E4 079FC923
	v_cndmask_b32_e64 v33, v228, v230, s[78:79]                // 00000000BB8C: D1000021 013BCDE4
	v_and_or_b32 v74, v33, v229, v32                           // 00000000BB94: D201004A 0483CB21
	v_accvgpr_read_b32 v34, a158                               // 00000000BB9C: D3D84022 1800019E
	v_accvgpr_read_b32 v35, a159                               // 00000000BBA4: D3D84023 1800019F
	v_mul_f32_e32 v34, s48, v34                                // 00000000BBAC: 0A444430
	v_mul_f32_e32 v35, s48, v35                                // 00000000BBB0: 0A464630
	v_cmp_u_f32_e64 s[78:79], v34, v34                         // 00000000BBB4: D048004E 00024522
	v_bfe_u32 v228, v34, 16, 1                                 // 00000000BBBC: D1C800E4 02052122
	v_add3_u32 v228, v34, v228, v231                           // 00000000BBC4: D1FF00E4 079FC922
	v_cndmask_b32_e64 v32, v228, v230, s[78:79]                // 00000000BBCC: D1000020 013BCDE4
	v_lshrrev_b32_e32 v32, 16, v32                             // 00000000BBD4: 20404090
	v_cmp_u_f32_e64 s[78:79], v35, v35                         // 00000000BBD8: D048004E 00024723
	v_bfe_u32 v228, v35, 16, 1                                 // 00000000BBE0: D1C800E4 02052123
	v_add3_u32 v228, v35, v228, v231                           // 00000000BBE8: D1FF00E4 079FC923
	v_cndmask_b32_e64 v33, v228, v230, s[78:79]                // 00000000BBF0: D1000021 013BCDE4
	v_and_or_b32 v75, v33, v229, v32                           // 00000000BBF8: D201004B 0483CB21
	ds_write_b64 v31, v[68:69] offset:17408                    // 00000000BC00: D89A4400 0000441F
	ds_write_b64 v31, v[70:71] offset:17952                    // 00000000BC08: D89A4620 0000461F
	ds_write_b64 v31, v[72:73] offset:18496                    // 00000000BC10: D89A4840 0000481F
	ds_write_b64 v31, v[74:75] offset:19040                    // 00000000BC18: D89A4A60 00004A1F
	s_waitcnt lgkmcnt(0)                                       // 00000000BC20: BF8CC07F
	s_barrier                                                  // 00000000BC24: BF8A0000
	ds_read_b64 v[68:69], v30 offset:17408                     // 00000000BC28: D8EC4400 4400001E
	ds_read_b64 v[70:71], v30 offset:17536                     // 00000000BC30: D8EC4480 4600001E
	ds_read_b64 v[72:73], v30 offset:17472                     // 00000000BC38: D8EC4440 4800001E
	ds_read_b64 v[74:75], v30 offset:17600                     // 00000000BC40: D8EC44C0 4A00001E
	s_waitcnt lgkmcnt(0)                                       // 00000000BC48: BF8CC07F
	buffer_store_dwordx4 v[68:71], v5, s[36:39], 0 idxen       // 00000000BC4C: E07C2000 80094405
	s_mul_i32 s60, 2, s46                                      // 00000000BC54: 923C2E82
	v_add_u32_e32 v5, s60, v5                                  // 00000000BC58: 680A0A3C
	buffer_store_dwordx4 v[72:75], v5, s[36:39], 0 idxen       // 00000000BC5C: E07C2000 80094805
	s_mul_i32 s60, 2, s46                                      // 00000000BC64: 923C2E82
	v_add_u32_e32 v5, s60, v5                                  // 00000000BC68: 680A0A3C
	s_mul_i32 s60, 12, s46                                     // 00000000BC6C: 923C2E8C
	v_add_u32_e32 v5, s60, v5                                  // 00000000BC70: 680A0A3C
	s_barrier                                                  // 00000000BC74: BF8A0000
	s_cmp_ge_i32 3, s72                                        // 00000000BC78: BF034883
	s_cbranch_scc1 label_1F20                                  // 00000000BC7C: BF850000

000000000000bc80 <label_1F20>:
	v_mov_b32_e32 v34, v180                                    // 00000000BC80: 7E4403B4
	v_mov_b32_e32 v35, v181                                    // 00000000BC84: 7E4603B5
	v_cmp_u_f32_e64 s[78:79], v34, v34                         // 00000000BC88: D048004E 00024522
	v_bfe_u32 v228, v34, 16, 1                                 // 00000000BC90: D1C800E4 02052122
	v_add3_u32 v228, v34, v228, v231                           // 00000000BC98: D1FF00E4 079FC922
	v_cndmask_b32_e64 v32, v228, v230, s[78:79]                // 00000000BCA0: D1000020 013BCDE4
	v_lshrrev_b32_e32 v32, 16, v32                             // 00000000BCA8: 20404090
	v_cmp_u_f32_e64 s[78:79], v35, v35                         // 00000000BCAC: D048004E 00024723
	v_bfe_u32 v228, v35, 16, 1                                 // 00000000BCB4: D1C800E4 02052123
	v_add3_u32 v228, v35, v228, v231                           // 00000000BCBC: D1FF00E4 079FC923
	v_cndmask_b32_e64 v33, v228, v230, s[78:79]                // 00000000BCC4: D1000021 013BCDE4
	v_and_or_b32 v180, v33, v229, v32                          // 00000000BCCC: D20100B4 0483CB21
	v_mov_b32_e32 v34, v182                                    // 00000000BCD4: 7E4403B6
	v_mov_b32_e32 v35, v183                                    // 00000000BCD8: 7E4603B7
	v_cmp_u_f32_e64 s[78:79], v34, v34                         // 00000000BCDC: D048004E 00024522
	v_bfe_u32 v228, v34, 16, 1                                 // 00000000BCE4: D1C800E4 02052122
	v_add3_u32 v228, v34, v228, v231                           // 00000000BCEC: D1FF00E4 079FC922
	v_cndmask_b32_e64 v32, v228, v230, s[78:79]                // 00000000BCF4: D1000020 013BCDE4
	v_lshrrev_b32_e32 v32, 16, v32                             // 00000000BCFC: 20404090
	v_cmp_u_f32_e64 s[78:79], v35, v35                         // 00000000BD00: D048004E 00024723
	v_bfe_u32 v228, v35, 16, 1                                 // 00000000BD08: D1C800E4 02052123
	v_add3_u32 v228, v35, v228, v231                           // 00000000BD10: D1FF00E4 079FC923
	v_cndmask_b32_e64 v33, v228, v230, s[78:79]                // 00000000BD18: D1000021 013BCDE4
	v_and_or_b32 v181, v33, v229, v32                          // 00000000BD20: D20100B5 0483CB21
	v_mov_b32_e32 v34, v184                                    // 00000000BD28: 7E4403B8
	v_mov_b32_e32 v35, v185                                    // 00000000BD2C: 7E4603B9
	v_cmp_u_f32_e64 s[78:79], v34, v34                         // 00000000BD30: D048004E 00024522
	v_bfe_u32 v228, v34, 16, 1                                 // 00000000BD38: D1C800E4 02052122
	v_add3_u32 v228, v34, v228, v231                           // 00000000BD40: D1FF00E4 079FC922
	v_cndmask_b32_e64 v32, v228, v230, s[78:79]                // 00000000BD48: D1000020 013BCDE4
	v_lshrrev_b32_e32 v32, 16, v32                             // 00000000BD50: 20404090
	v_cmp_u_f32_e64 s[78:79], v35, v35                         // 00000000BD54: D048004E 00024723
	v_bfe_u32 v228, v35, 16, 1                                 // 00000000BD5C: D1C800E4 02052123
	v_add3_u32 v228, v35, v228, v231                           // 00000000BD64: D1FF00E4 079FC923
	v_cndmask_b32_e64 v33, v228, v230, s[78:79]                // 00000000BD6C: D1000021 013BCDE4
	v_and_or_b32 v182, v33, v229, v32                          // 00000000BD74: D20100B6 0483CB21
	v_mov_b32_e32 v34, v186                                    // 00000000BD7C: 7E4403BA
	v_mov_b32_e32 v35, v187                                    // 00000000BD80: 7E4603BB
	v_cmp_u_f32_e64 s[78:79], v34, v34                         // 00000000BD84: D048004E 00024522
	v_bfe_u32 v228, v34, 16, 1                                 // 00000000BD8C: D1C800E4 02052122
	v_add3_u32 v228, v34, v228, v231                           // 00000000BD94: D1FF00E4 079FC922
	v_cndmask_b32_e64 v32, v228, v230, s[78:79]                // 00000000BD9C: D1000020 013BCDE4
	v_lshrrev_b32_e32 v32, 16, v32                             // 00000000BDA4: 20404090
	v_cmp_u_f32_e64 s[78:79], v35, v35                         // 00000000BDA8: D048004E 00024723
	v_bfe_u32 v228, v35, 16, 1                                 // 00000000BDB0: D1C800E4 02052123
	v_add3_u32 v228, v35, v228, v231                           // 00000000BDB8: D1FF00E4 079FC923
	v_cndmask_b32_e64 v33, v228, v230, s[78:79]                // 00000000BDC0: D1000021 013BCDE4
	v_and_or_b32 v183, v33, v229, v32                          // 00000000BDC8: D20100B7 0483CB21
	v_mov_b32_e32 v34, v188                                    // 00000000BDD0: 7E4403BC
	v_mov_b32_e32 v35, v189                                    // 00000000BDD4: 7E4603BD
	v_cmp_u_f32_e64 s[78:79], v34, v34                         // 00000000BDD8: D048004E 00024522
	v_bfe_u32 v228, v34, 16, 1                                 // 00000000BDE0: D1C800E4 02052122
	v_add3_u32 v228, v34, v228, v231                           // 00000000BDE8: D1FF00E4 079FC922
	v_cndmask_b32_e64 v32, v228, v230, s[78:79]                // 00000000BDF0: D1000020 013BCDE4
	v_lshrrev_b32_e32 v32, 16, v32                             // 00000000BDF8: 20404090
	v_cmp_u_f32_e64 s[78:79], v35, v35                         // 00000000BDFC: D048004E 00024723
	v_bfe_u32 v228, v35, 16, 1                                 // 00000000BE04: D1C800E4 02052123
	v_add3_u32 v228, v35, v228, v231                           // 00000000BE0C: D1FF00E4 079FC923
	v_cndmask_b32_e64 v33, v228, v230, s[78:79]                // 00000000BE14: D1000021 013BCDE4
	v_and_or_b32 v184, v33, v229, v32                          // 00000000BE1C: D20100B8 0483CB21
	v_mov_b32_e32 v34, v190                                    // 00000000BE24: 7E4403BE
	v_mov_b32_e32 v35, v191                                    // 00000000BE28: 7E4603BF
	v_cmp_u_f32_e64 s[78:79], v34, v34                         // 00000000BE2C: D048004E 00024522
	v_bfe_u32 v228, v34, 16, 1                                 // 00000000BE34: D1C800E4 02052122
	v_add3_u32 v228, v34, v228, v231                           // 00000000BE3C: D1FF00E4 079FC922
	v_cndmask_b32_e64 v32, v228, v230, s[78:79]                // 00000000BE44: D1000020 013BCDE4
	v_lshrrev_b32_e32 v32, 16, v32                             // 00000000BE4C: 20404090
	v_cmp_u_f32_e64 s[78:79], v35, v35                         // 00000000BE50: D048004E 00024723
	v_bfe_u32 v228, v35, 16, 1                                 // 00000000BE58: D1C800E4 02052123
	v_add3_u32 v228, v35, v228, v231                           // 00000000BE60: D1FF00E4 079FC923
	v_cndmask_b32_e64 v33, v228, v230, s[78:79]                // 00000000BE68: D1000021 013BCDE4
	v_and_or_b32 v185, v33, v229, v32                          // 00000000BE70: D20100B9 0483CB21
	v_mov_b32_e32 v34, v192                                    // 00000000BE78: 7E4403C0
	v_mov_b32_e32 v35, v193                                    // 00000000BE7C: 7E4603C1
	v_cmp_u_f32_e64 s[78:79], v34, v34                         // 00000000BE80: D048004E 00024522
	v_bfe_u32 v228, v34, 16, 1                                 // 00000000BE88: D1C800E4 02052122
	v_add3_u32 v228, v34, v228, v231                           // 00000000BE90: D1FF00E4 079FC922
	v_cndmask_b32_e64 v32, v228, v230, s[78:79]                // 00000000BE98: D1000020 013BCDE4
	v_lshrrev_b32_e32 v32, 16, v32                             // 00000000BEA0: 20404090
	v_cmp_u_f32_e64 s[78:79], v35, v35                         // 00000000BEA4: D048004E 00024723
	v_bfe_u32 v228, v35, 16, 1                                 // 00000000BEAC: D1C800E4 02052123
	v_add3_u32 v228, v35, v228, v231                           // 00000000BEB4: D1FF00E4 079FC923
	v_cndmask_b32_e64 v33, v228, v230, s[78:79]                // 00000000BEBC: D1000021 013BCDE4
	v_and_or_b32 v186, v33, v229, v32                          // 00000000BEC4: D20100BA 0483CB21
	v_mov_b32_e32 v34, v194                                    // 00000000BECC: 7E4403C2
	v_mov_b32_e32 v35, v195                                    // 00000000BED0: 7E4603C3
	v_cmp_u_f32_e64 s[78:79], v34, v34                         // 00000000BED4: D048004E 00024522
	v_bfe_u32 v228, v34, 16, 1                                 // 00000000BEDC: D1C800E4 02052122
	v_add3_u32 v228, v34, v228, v231                           // 00000000BEE4: D1FF00E4 079FC922
	v_cndmask_b32_e64 v32, v228, v230, s[78:79]                // 00000000BEEC: D1000020 013BCDE4
	v_lshrrev_b32_e32 v32, 16, v32                             // 00000000BEF4: 20404090
	v_cmp_u_f32_e64 s[78:79], v35, v35                         // 00000000BEF8: D048004E 00024723
	v_bfe_u32 v228, v35, 16, 1                                 // 00000000BF00: D1C800E4 02052123
	v_add3_u32 v228, v35, v228, v231                           // 00000000BF08: D1FF00E4 079FC923
	v_cndmask_b32_e64 v33, v228, v230, s[78:79]                // 00000000BF10: D1000021 013BCDE4
	v_and_or_b32 v187, v33, v229, v32                          // 00000000BF18: D20100BB 0483CB21
	ds_write_b64 v31, v[180:181]                               // 00000000BF20: D89A0000 0000B41F
	ds_write_b64 v31, v[182:183] offset:544                    // 00000000BF28: D89A0220 0000B61F
	ds_write_b64 v31, v[184:185] offset:1088                   // 00000000BF30: D89A0440 0000B81F
	ds_write_b64 v31, v[186:187] offset:1632                   // 00000000BF38: D89A0660 0000BA1F
	s_waitcnt lgkmcnt(0)                                       // 00000000BF40: BF8CC07F
	s_barrier                                                  // 00000000BF44: BF8A0000
	ds_read_b64 v[180:181], v30                                // 00000000BF48: D8EC0000 B400001E
	ds_read_b64 v[182:183], v30 offset:128                     // 00000000BF50: D8EC0080 B600001E
	ds_read_b64 v[184:185], v30 offset:64                      // 00000000BF58: D8EC0040 B800001E
	ds_read_b64 v[186:187], v30 offset:192                     // 00000000BF60: D8EC00C0 BA00001E
	s_waitcnt lgkmcnt(0)                                       // 00000000BF68: BF8CC07F
	buffer_store_dwordx4 v[180:183], v14, s[40:43], 0 idxen    // 00000000BF6C: E07C2000 800AB40E
	s_mul_i32 s60, 2, s46                                      // 00000000BF74: 923C2E82
	v_add_u32_e32 v14, s60, v14                                // 00000000BF78: 681C1C3C
	buffer_store_dwordx4 v[184:187], v14, s[40:43], 0 idxen    // 00000000BF7C: E07C2000 800AB80E
	s_mul_i32 s60, 2, s46                                      // 00000000BF84: 923C2E82
	v_add_u32_e32 v14, s60, v14                                // 00000000BF88: 681C1C3C
	s_mul_i32 s60, 12, s46                                     // 00000000BF8C: 923C2E8C
	v_add_u32_e32 v14, s60, v14                                // 00000000BF90: 681C1C3C
	s_cmp_ge_i32 1, s72                                        // 00000000BF94: BF034881
	s_cbranch_scc1 label_2175                                  // 00000000BF98: BF85018E
	v_mov_b32_e32 v34, v196                                    // 00000000BF9C: 7E4403C4
	v_mov_b32_e32 v35, v197                                    // 00000000BFA0: 7E4603C5
	v_cmp_u_f32_e64 s[78:79], v34, v34                         // 00000000BFA4: D048004E 00024522
	v_bfe_u32 v228, v34, 16, 1                                 // 00000000BFAC: D1C800E4 02052122
	v_add3_u32 v228, v34, v228, v231                           // 00000000BFB4: D1FF00E4 079FC922
	v_cndmask_b32_e64 v32, v228, v230, s[78:79]                // 00000000BFBC: D1000020 013BCDE4
	v_lshrrev_b32_e32 v32, 16, v32                             // 00000000BFC4: 20404090
	v_cmp_u_f32_e64 s[78:79], v35, v35                         // 00000000BFC8: D048004E 00024723
	v_bfe_u32 v228, v35, 16, 1                                 // 00000000BFD0: D1C800E4 02052123
	v_add3_u32 v228, v35, v228, v231                           // 00000000BFD8: D1FF00E4 079FC923
	v_cndmask_b32_e64 v33, v228, v230, s[78:79]                // 00000000BFE0: D1000021 013BCDE4
	v_and_or_b32 v188, v33, v229, v32                          // 00000000BFE8: D20100BC 0483CB21
	v_mov_b32_e32 v34, v198                                    // 00000000BFF0: 7E4403C6
	v_mov_b32_e32 v35, v199                                    // 00000000BFF4: 7E4603C7
	v_cmp_u_f32_e64 s[78:79], v34, v34                         // 00000000BFF8: D048004E 00024522
	v_bfe_u32 v228, v34, 16, 1                                 // 00000000C000: D1C800E4 02052122
	v_add3_u32 v228, v34, v228, v231                           // 00000000C008: D1FF00E4 079FC922
	v_cndmask_b32_e64 v32, v228, v230, s[78:79]                // 00000000C010: D1000020 013BCDE4
	v_lshrrev_b32_e32 v32, 16, v32                             // 00000000C018: 20404090
	v_cmp_u_f32_e64 s[78:79], v35, v35                         // 00000000C01C: D048004E 00024723
	v_bfe_u32 v228, v35, 16, 1                                 // 00000000C024: D1C800E4 02052123
	v_add3_u32 v228, v35, v228, v231                           // 00000000C02C: D1FF00E4 079FC923
	v_cndmask_b32_e64 v33, v228, v230, s[78:79]                // 00000000C034: D1000021 013BCDE4
	v_and_or_b32 v189, v33, v229, v32                          // 00000000C03C: D20100BD 0483CB21
	v_mov_b32_e32 v34, v200                                    // 00000000C044: 7E4403C8
	v_mov_b32_e32 v35, v201                                    // 00000000C048: 7E4603C9
	v_cmp_u_f32_e64 s[78:79], v34, v34                         // 00000000C04C: D048004E 00024522
	v_bfe_u32 v228, v34, 16, 1                                 // 00000000C054: D1C800E4 02052122
	v_add3_u32 v228, v34, v228, v231                           // 00000000C05C: D1FF00E4 079FC922
	v_cndmask_b32_e64 v32, v228, v230, s[78:79]                // 00000000C064: D1000020 013BCDE4
	v_lshrrev_b32_e32 v32, 16, v32                             // 00000000C06C: 20404090
	v_cmp_u_f32_e64 s[78:79], v35, v35                         // 00000000C070: D048004E 00024723
	v_bfe_u32 v228, v35, 16, 1                                 // 00000000C078: D1C800E4 02052123
	v_add3_u32 v228, v35, v228, v231                           // 00000000C080: D1FF00E4 079FC923
	v_cndmask_b32_e64 v33, v228, v230, s[78:79]                // 00000000C088: D1000021 013BCDE4
	v_and_or_b32 v190, v33, v229, v32                          // 00000000C090: D20100BE 0483CB21
	v_mov_b32_e32 v34, v202                                    // 00000000C098: 7E4403CA
	v_mov_b32_e32 v35, v203                                    // 00000000C09C: 7E4603CB
	v_cmp_u_f32_e64 s[78:79], v34, v34                         // 00000000C0A0: D048004E 00024522
	v_bfe_u32 v228, v34, 16, 1                                 // 00000000C0A8: D1C800E4 02052122
	v_add3_u32 v228, v34, v228, v231                           // 00000000C0B0: D1FF00E4 079FC922
	v_cndmask_b32_e64 v32, v228, v230, s[78:79]                // 00000000C0B8: D1000020 013BCDE4
	v_lshrrev_b32_e32 v32, 16, v32                             // 00000000C0C0: 20404090
	v_cmp_u_f32_e64 s[78:79], v35, v35                         // 00000000C0C4: D048004E 00024723
	v_bfe_u32 v228, v35, 16, 1                                 // 00000000C0CC: D1C800E4 02052123
	v_add3_u32 v228, v35, v228, v231                           // 00000000C0D4: D1FF00E4 079FC923
	v_cndmask_b32_e64 v33, v228, v230, s[78:79]                // 00000000C0DC: D1000021 013BCDE4
	v_and_or_b32 v191, v33, v229, v32                          // 00000000C0E4: D20100BF 0483CB21
	v_mov_b32_e32 v34, v204                                    // 00000000C0EC: 7E4403CC
	v_mov_b32_e32 v35, v205                                    // 00000000C0F0: 7E4603CD
	v_cmp_u_f32_e64 s[78:79], v34, v34                         // 00000000C0F4: D048004E 00024522
	v_bfe_u32 v228, v34, 16, 1                                 // 00000000C0FC: D1C800E4 02052122
	v_add3_u32 v228, v34, v228, v231                           // 00000000C104: D1FF00E4 079FC922
	v_cndmask_b32_e64 v32, v228, v230, s[78:79]                // 00000000C10C: D1000020 013BCDE4
	v_lshrrev_b32_e32 v32, 16, v32                             // 00000000C114: 20404090
	v_cmp_u_f32_e64 s[78:79], v35, v35                         // 00000000C118: D048004E 00024723
	v_bfe_u32 v228, v35, 16, 1                                 // 00000000C120: D1C800E4 02052123
	v_add3_u32 v228, v35, v228, v231                           // 00000000C128: D1FF00E4 079FC923
	v_cndmask_b32_e64 v33, v228, v230, s[78:79]                // 00000000C130: D1000021 013BCDE4
	v_and_or_b32 v192, v33, v229, v32                          // 00000000C138: D20100C0 0483CB21
	v_mov_b32_e32 v34, v206                                    // 00000000C140: 7E4403CE
	v_mov_b32_e32 v35, v207                                    // 00000000C144: 7E4603CF
	v_cmp_u_f32_e64 s[78:79], v34, v34                         // 00000000C148: D048004E 00024522
	v_bfe_u32 v228, v34, 16, 1                                 // 00000000C150: D1C800E4 02052122
	v_add3_u32 v228, v34, v228, v231                           // 00000000C158: D1FF00E4 079FC922
	v_cndmask_b32_e64 v32, v228, v230, s[78:79]                // 00000000C160: D1000020 013BCDE4
	v_lshrrev_b32_e32 v32, 16, v32                             // 00000000C168: 20404090
	v_cmp_u_f32_e64 s[78:79], v35, v35                         // 00000000C16C: D048004E 00024723
	v_bfe_u32 v228, v35, 16, 1                                 // 00000000C174: D1C800E4 02052123
	v_add3_u32 v228, v35, v228, v231                           // 00000000C17C: D1FF00E4 079FC923
	v_cndmask_b32_e64 v33, v228, v230, s[78:79]                // 00000000C184: D1000021 013BCDE4
	v_and_or_b32 v193, v33, v229, v32                          // 00000000C18C: D20100C1 0483CB21
	v_mov_b32_e32 v34, v208                                    // 00000000C194: 7E4403D0
	v_mov_b32_e32 v35, v209                                    // 00000000C198: 7E4603D1
	v_cmp_u_f32_e64 s[78:79], v34, v34                         // 00000000C19C: D048004E 00024522
	v_bfe_u32 v228, v34, 16, 1                                 // 00000000C1A4: D1C800E4 02052122
	v_add3_u32 v228, v34, v228, v231                           // 00000000C1AC: D1FF00E4 079FC922
	v_cndmask_b32_e64 v32, v228, v230, s[78:79]                // 00000000C1B4: D1000020 013BCDE4
	v_lshrrev_b32_e32 v32, 16, v32                             // 00000000C1BC: 20404090
	v_cmp_u_f32_e64 s[78:79], v35, v35                         // 00000000C1C0: D048004E 00024723
	v_bfe_u32 v228, v35, 16, 1                                 // 00000000C1C8: D1C800E4 02052123
	v_add3_u32 v228, v35, v228, v231                           // 00000000C1D0: D1FF00E4 079FC923
	v_cndmask_b32_e64 v33, v228, v230, s[78:79]                // 00000000C1D8: D1000021 013BCDE4
	v_and_or_b32 v194, v33, v229, v32                          // 00000000C1E0: D20100C2 0483CB21
	v_mov_b32_e32 v34, v210                                    // 00000000C1E8: 7E4403D2
	v_mov_b32_e32 v35, v211                                    // 00000000C1EC: 7E4603D3
	v_cmp_u_f32_e64 s[78:79], v34, v34                         // 00000000C1F0: D048004E 00024522
	v_bfe_u32 v228, v34, 16, 1                                 // 00000000C1F8: D1C800E4 02052122
	v_add3_u32 v228, v34, v228, v231                           // 00000000C200: D1FF00E4 079FC922
	v_cndmask_b32_e64 v32, v228, v230, s[78:79]                // 00000000C208: D1000020 013BCDE4
	v_lshrrev_b32_e32 v32, 16, v32                             // 00000000C210: 20404090
	v_cmp_u_f32_e64 s[78:79], v35, v35                         // 00000000C214: D048004E 00024723
	v_bfe_u32 v228, v35, 16, 1                                 // 00000000C21C: D1C800E4 02052123
	v_add3_u32 v228, v35, v228, v231                           // 00000000C224: D1FF00E4 079FC923
	v_cndmask_b32_e64 v33, v228, v230, s[78:79]                // 00000000C22C: D1000021 013BCDE4
	v_and_or_b32 v195, v33, v229, v32                          // 00000000C234: D20100C3 0483CB21
	ds_write_b64 v31, v[188:189] offset:8704                   // 00000000C23C: D89A2200 0000BC1F
	ds_write_b64 v31, v[190:191] offset:9248                   // 00000000C244: D89A2420 0000BE1F
	ds_write_b64 v31, v[192:193] offset:9792                   // 00000000C24C: D89A2640 0000C01F
	ds_write_b64 v31, v[194:195] offset:10336                  // 00000000C254: D89A2860 0000C21F
	s_waitcnt lgkmcnt(0)                                       // 00000000C25C: BF8CC07F
	s_barrier                                                  // 00000000C260: BF8A0000
	ds_read_b64 v[188:189], v30 offset:8704                    // 00000000C264: D8EC2200 BC00001E
	ds_read_b64 v[190:191], v30 offset:8832                    // 00000000C26C: D8EC2280 BE00001E
	ds_read_b64 v[192:193], v30 offset:8768                    // 00000000C274: D8EC2240 C000001E
	ds_read_b64 v[194:195], v30 offset:8896                    // 00000000C27C: D8EC22C0 C200001E
	s_waitcnt lgkmcnt(0)                                       // 00000000C284: BF8CC07F
	buffer_store_dwordx4 v[188:191], v14, s[40:43], 0 idxen    // 00000000C288: E07C2000 800ABC0E
	s_mul_i32 s60, 2, s46                                      // 00000000C290: 923C2E82
	v_add_u32_e32 v14, s60, v14                                // 00000000C294: 681C1C3C
	buffer_store_dwordx4 v[192:195], v14, s[40:43], 0 idxen    // 00000000C298: E07C2000 800AC00E
	s_mul_i32 s60, 2, s46                                      // 00000000C2A0: 923C2E82
	v_add_u32_e32 v14, s60, v14                                // 00000000C2A4: 681C1C3C
	s_mul_i32 s60, 12, s46                                     // 00000000C2A8: 923C2E8C
	v_add_u32_e32 v14, s60, v14                                // 00000000C2AC: 681C1C3C
	s_cmp_ge_i32 2, s72                                        // 00000000C2B0: BF034882
	s_cbranch_scc1 label_2175                                  // 00000000C2B4: BF8500C7
	v_mov_b32_e32 v34, v212                                    // 00000000C2B8: 7E4403D4
	v_mov_b32_e32 v35, v213                                    // 00000000C2BC: 7E4603D5
	v_cmp_u_f32_e64 s[78:79], v34, v34                         // 00000000C2C0: D048004E 00024522
	v_bfe_u32 v228, v34, 16, 1                                 // 00000000C2C8: D1C800E4 02052122
	v_add3_u32 v228, v34, v228, v231                           // 00000000C2D0: D1FF00E4 079FC922
	v_cndmask_b32_e64 v32, v228, v230, s[78:79]                // 00000000C2D8: D1000020 013BCDE4
	v_lshrrev_b32_e32 v32, 16, v32                             // 00000000C2E0: 20404090
	v_cmp_u_f32_e64 s[78:79], v35, v35                         // 00000000C2E4: D048004E 00024723
	v_bfe_u32 v228, v35, 16, 1                                 // 00000000C2EC: D1C800E4 02052123
	v_add3_u32 v228, v35, v228, v231                           // 00000000C2F4: D1FF00E4 079FC923
	v_cndmask_b32_e64 v33, v228, v230, s[78:79]                // 00000000C2FC: D1000021 013BCDE4
	v_and_or_b32 v196, v33, v229, v32                          // 00000000C304: D20100C4 0483CB21
	v_mov_b32_e32 v34, v214                                    // 00000000C30C: 7E4403D6
	v_mov_b32_e32 v35, v215                                    // 00000000C310: 7E4603D7
	v_cmp_u_f32_e64 s[78:79], v34, v34                         // 00000000C314: D048004E 00024522
	v_bfe_u32 v228, v34, 16, 1                                 // 00000000C31C: D1C800E4 02052122
	v_add3_u32 v228, v34, v228, v231                           // 00000000C324: D1FF00E4 079FC922
	v_cndmask_b32_e64 v32, v228, v230, s[78:79]                // 00000000C32C: D1000020 013BCDE4
	v_lshrrev_b32_e32 v32, 16, v32                             // 00000000C334: 20404090
	v_cmp_u_f32_e64 s[78:79], v35, v35                         // 00000000C338: D048004E 00024723
	v_bfe_u32 v228, v35, 16, 1                                 // 00000000C340: D1C800E4 02052123
	v_add3_u32 v228, v35, v228, v231                           // 00000000C348: D1FF00E4 079FC923
	v_cndmask_b32_e64 v33, v228, v230, s[78:79]                // 00000000C350: D1000021 013BCDE4
	v_and_or_b32 v197, v33, v229, v32                          // 00000000C358: D20100C5 0483CB21
	v_mov_b32_e32 v34, v216                                    // 00000000C360: 7E4403D8
	v_mov_b32_e32 v35, v217                                    // 00000000C364: 7E4603D9
	v_cmp_u_f32_e64 s[78:79], v34, v34                         // 00000000C368: D048004E 00024522
	v_bfe_u32 v228, v34, 16, 1                                 // 00000000C370: D1C800E4 02052122
	v_add3_u32 v228, v34, v228, v231                           // 00000000C378: D1FF00E4 079FC922
	v_cndmask_b32_e64 v32, v228, v230, s[78:79]                // 00000000C380: D1000020 013BCDE4
	v_lshrrev_b32_e32 v32, 16, v32                             // 00000000C388: 20404090
	v_cmp_u_f32_e64 s[78:79], v35, v35                         // 00000000C38C: D048004E 00024723
	v_bfe_u32 v228, v35, 16, 1                                 // 00000000C394: D1C800E4 02052123
	v_add3_u32 v228, v35, v228, v231                           // 00000000C39C: D1FF00E4 079FC923
	v_cndmask_b32_e64 v33, v228, v230, s[78:79]                // 00000000C3A4: D1000021 013BCDE4
	v_and_or_b32 v198, v33, v229, v32                          // 00000000C3AC: D20100C6 0483CB21
	v_mov_b32_e32 v34, v218                                    // 00000000C3B4: 7E4403DA
	v_mov_b32_e32 v35, v219                                    // 00000000C3B8: 7E4603DB
	v_cmp_u_f32_e64 s[78:79], v34, v34                         // 00000000C3BC: D048004E 00024522
	v_bfe_u32 v228, v34, 16, 1                                 // 00000000C3C4: D1C800E4 02052122
	v_add3_u32 v228, v34, v228, v231                           // 00000000C3CC: D1FF00E4 079FC922
	v_cndmask_b32_e64 v32, v228, v230, s[78:79]                // 00000000C3D4: D1000020 013BCDE4
	v_lshrrev_b32_e32 v32, 16, v32                             // 00000000C3DC: 20404090
	v_cmp_u_f32_e64 s[78:79], v35, v35                         // 00000000C3E0: D048004E 00024723
	v_bfe_u32 v228, v35, 16, 1                                 // 00000000C3E8: D1C800E4 02052123
	v_add3_u32 v228, v35, v228, v231                           // 00000000C3F0: D1FF00E4 079FC923
	v_cndmask_b32_e64 v33, v228, v230, s[78:79]                // 00000000C3F8: D1000021 013BCDE4
	v_and_or_b32 v199, v33, v229, v32                          // 00000000C400: D20100C7 0483CB21
	v_mov_b32_e32 v34, v220                                    // 00000000C408: 7E4403DC
	v_mov_b32_e32 v35, v221                                    // 00000000C40C: 7E4603DD
	v_cmp_u_f32_e64 s[78:79], v34, v34                         // 00000000C410: D048004E 00024522
	v_bfe_u32 v228, v34, 16, 1                                 // 00000000C418: D1C800E4 02052122
	v_add3_u32 v228, v34, v228, v231                           // 00000000C420: D1FF00E4 079FC922
	v_cndmask_b32_e64 v32, v228, v230, s[78:79]                // 00000000C428: D1000020 013BCDE4
	v_lshrrev_b32_e32 v32, 16, v32                             // 00000000C430: 20404090
	v_cmp_u_f32_e64 s[78:79], v35, v35                         // 00000000C434: D048004E 00024723
	v_bfe_u32 v228, v35, 16, 1                                 // 00000000C43C: D1C800E4 02052123
	v_add3_u32 v228, v35, v228, v231                           // 00000000C444: D1FF00E4 079FC923
	v_cndmask_b32_e64 v33, v228, v230, s[78:79]                // 00000000C44C: D1000021 013BCDE4
	v_and_or_b32 v200, v33, v229, v32                          // 00000000C454: D20100C8 0483CB21
	v_mov_b32_e32 v34, v222                                    // 00000000C45C: 7E4403DE
	v_mov_b32_e32 v35, v223                                    // 00000000C460: 7E4603DF
	v_cmp_u_f32_e64 s[78:79], v34, v34                         // 00000000C464: D048004E 00024522
	v_bfe_u32 v228, v34, 16, 1                                 // 00000000C46C: D1C800E4 02052122
	v_add3_u32 v228, v34, v228, v231                           // 00000000C474: D1FF00E4 079FC922
	v_cndmask_b32_e64 v32, v228, v230, s[78:79]                // 00000000C47C: D1000020 013BCDE4
	v_lshrrev_b32_e32 v32, 16, v32                             // 00000000C484: 20404090
	v_cmp_u_f32_e64 s[78:79], v35, v35                         // 00000000C488: D048004E 00024723
	v_bfe_u32 v228, v35, 16, 1                                 // 00000000C490: D1C800E4 02052123
	v_add3_u32 v228, v35, v228, v231                           // 00000000C498: D1FF00E4 079FC923
	v_cndmask_b32_e64 v33, v228, v230, s[78:79]                // 00000000C4A0: D1000021 013BCDE4
	v_and_or_b32 v201, v33, v229, v32                          // 00000000C4A8: D20100C9 0483CB21
	v_mov_b32_e32 v34, v224                                    // 00000000C4B0: 7E4403E0
	v_mov_b32_e32 v35, v225                                    // 00000000C4B4: 7E4603E1
	v_cmp_u_f32_e64 s[78:79], v34, v34                         // 00000000C4B8: D048004E 00024522
	v_bfe_u32 v228, v34, 16, 1                                 // 00000000C4C0: D1C800E4 02052122
	v_add3_u32 v228, v34, v228, v231                           // 00000000C4C8: D1FF00E4 079FC922
	v_cndmask_b32_e64 v32, v228, v230, s[78:79]                // 00000000C4D0: D1000020 013BCDE4
	v_lshrrev_b32_e32 v32, 16, v32                             // 00000000C4D8: 20404090
	v_cmp_u_f32_e64 s[78:79], v35, v35                         // 00000000C4DC: D048004E 00024723
	v_bfe_u32 v228, v35, 16, 1                                 // 00000000C4E4: D1C800E4 02052123
	v_add3_u32 v228, v35, v228, v231                           // 00000000C4EC: D1FF00E4 079FC923
	v_cndmask_b32_e64 v33, v228, v230, s[78:79]                // 00000000C4F4: D1000021 013BCDE4
	v_and_or_b32 v202, v33, v229, v32                          // 00000000C4FC: D20100CA 0483CB21
	v_mov_b32_e32 v34, v226                                    // 00000000C504: 7E4403E2
	v_mov_b32_e32 v35, v227                                    // 00000000C508: 7E4603E3
	v_cmp_u_f32_e64 s[78:79], v34, v34                         // 00000000C50C: D048004E 00024522
	v_bfe_u32 v228, v34, 16, 1                                 // 00000000C514: D1C800E4 02052122
	v_add3_u32 v228, v34, v228, v231                           // 00000000C51C: D1FF00E4 079FC922
	v_cndmask_b32_e64 v32, v228, v230, s[78:79]                // 00000000C524: D1000020 013BCDE4
	v_lshrrev_b32_e32 v32, 16, v32                             // 00000000C52C: 20404090
	v_cmp_u_f32_e64 s[78:79], v35, v35                         // 00000000C530: D048004E 00024723
	v_bfe_u32 v228, v35, 16, 1                                 // 00000000C538: D1C800E4 02052123
	v_add3_u32 v228, v35, v228, v231                           // 00000000C540: D1FF00E4 079FC923
	v_cndmask_b32_e64 v33, v228, v230, s[78:79]                // 00000000C548: D1000021 013BCDE4
	v_and_or_b32 v203, v33, v229, v32                          // 00000000C550: D20100CB 0483CB21
	ds_write_b64 v31, v[196:197] offset:17408                  // 00000000C558: D89A4400 0000C41F
	ds_write_b64 v31, v[198:199] offset:17952                  // 00000000C560: D89A4620 0000C61F
	ds_write_b64 v31, v[200:201] offset:18496                  // 00000000C568: D89A4840 0000C81F
	ds_write_b64 v31, v[202:203] offset:19040                  // 00000000C570: D89A4A60 0000CA1F
	s_waitcnt lgkmcnt(0)                                       // 00000000C578: BF8CC07F
	s_barrier                                                  // 00000000C57C: BF8A0000
	ds_read_b64 v[196:197], v30 offset:17408                   // 00000000C580: D8EC4400 C400001E
	ds_read_b64 v[198:199], v30 offset:17536                   // 00000000C588: D8EC4480 C600001E
	ds_read_b64 v[200:201], v30 offset:17472                   // 00000000C590: D8EC4440 C800001E
	ds_read_b64 v[202:203], v30 offset:17600                   // 00000000C598: D8EC44C0 CA00001E
	s_waitcnt lgkmcnt(0)                                       // 00000000C5A0: BF8CC07F
	buffer_store_dwordx4 v[196:199], v14, s[40:43], 0 idxen    // 00000000C5A4: E07C2000 800AC40E
	s_mul_i32 s60, 2, s46                                      // 00000000C5AC: 923C2E82
	v_add_u32_e32 v14, s60, v14                                // 00000000C5B0: 681C1C3C
	buffer_store_dwordx4 v[200:203], v14, s[40:43], 0 idxen    // 00000000C5B4: E07C2000 800AC80E
	s_mul_i32 s60, 2, s46                                      // 00000000C5BC: 923C2E82
	v_add_u32_e32 v14, s60, v14                                // 00000000C5C0: 681C1C3C
	s_mul_i32 s60, 12, s46                                     // 00000000C5C4: 923C2E8C
	v_add_u32_e32 v14, s60, v14                                // 00000000C5C8: 681C1C3C
	s_cmp_ge_i32 3, s72                                        // 00000000C5CC: BF034883
	s_cbranch_scc1 label_2175                                  // 00000000C5D0: BF850000

000000000000c5d4 <label_2175>:
	s_waitcnt vmcnt(0) expcnt(0) lgkmcnt(0)                    // 00000000C5D4: BF8C0000
	s_mov_b32 s32, s90                                         // 00000000C5D8: BEA0005A
	s_mov_b32 s33, s91                                         // 00000000C5DC: BEA1005B
	s_sub_i32 s60, s77, 1                                      // 00000000C5E0: 81BC814D
	s_sub_i32 s2, s60, s2                                      // 00000000C5E4: 8182023C
	s_addk_i32 s75, 0x1                                        // 00000000C5E8: B74B0001
	s_cmp_lt_i32 s75, s76                                      // 00000000C5EC: BF044C4B
	s_cbranch_scc1 label_00F7                                  // 00000000C5F0: BF85DF7A
	s_endpgm                                                   // 00000000C5F4: BF810000
